;; amdgpu-corpus repo=ROCm/rocFFT kind=compiled arch=gfx950 opt=O3
	.text
	.amdgcn_target "amdgcn-amd-amdhsa--gfx950"
	.amdhsa_code_object_version 6
	.protected	fft_rtc_fwd_len128_factors_2_4_4_4_wgs_128_tpt_4_dim2_sp_ip_CI_sbcc_twdbase8_3step_dirReg ; -- Begin function fft_rtc_fwd_len128_factors_2_4_4_4_wgs_128_tpt_4_dim2_sp_ip_CI_sbcc_twdbase8_3step_dirReg
	.globl	fft_rtc_fwd_len128_factors_2_4_4_4_wgs_128_tpt_4_dim2_sp_ip_CI_sbcc_twdbase8_3step_dirReg
	.p2align	8
	.type	fft_rtc_fwd_len128_factors_2_4_4_4_wgs_128_tpt_4_dim2_sp_ip_CI_sbcc_twdbase8_3step_dirReg,@function
fft_rtc_fwd_len128_factors_2_4_4_4_wgs_128_tpt_4_dim2_sp_ip_CI_sbcc_twdbase8_3step_dirReg: ; @fft_rtc_fwd_len128_factors_2_4_4_4_wgs_128_tpt_4_dim2_sp_ip_CI_sbcc_twdbase8_3step_dirReg
; %bb.0:
	s_load_dwordx4 s[4:7], s[0:1], 0x10
	s_mov_b32 s3, 0
	s_mov_b64 s[16:17], -1
	s_mov_b64 s[18:19], 0
	s_waitcnt lgkmcnt(0)
	s_load_dwordx2 s[14:15], s[4:5], 0x8
	s_load_dwordx2 s[10:11], s[0:1], 0x50
	;; [unrolled: 1-line block ×3, first 2 shown]
	s_waitcnt lgkmcnt(0)
	s_add_u32 s4, s14, -1
	s_addc_u32 s5, s15, -1
	s_lshr_b64 s[4:5], s[4:5], 5
	s_add_u32 s4, s4, 1
	s_addc_u32 s5, s5, 0
	v_mov_b64_e32 v[2:3], s[4:5]
	v_cmp_lt_u64_e32 vcc, s[2:3], v[2:3]
	s_cbranch_vccnz .LBB0_2
; %bb.1:
	v_cvt_f32_u32_e32 v1, s4
	s_sub_i32 s3, 0, s4
	v_rcp_iflag_f32_e32 v1, v1
	s_nop 0
	v_mul_f32_e32 v1, 0x4f7ffffe, v1
	v_cvt_u32_f32_e32 v1, v1
	s_nop 0
	v_readfirstlane_b32 s12, v1
	s_mul_i32 s3, s3, s12
	s_mul_hi_u32 s3, s12, s3
	s_add_i32 s12, s12, s3
	s_mul_hi_u32 s3, s2, s12
	s_mul_i32 s13, s3, s4
	s_sub_i32 s13, s2, s13
	s_add_i32 s12, s3, 1
	s_sub_i32 s18, s13, s4
	s_cmp_ge_u32 s13, s4
	s_cselect_b32 s3, s12, s3
	s_cselect_b32 s13, s18, s13
	s_add_i32 s12, s3, 1
	s_cmp_ge_u32 s13, s4
	s_cselect_b32 s18, s12, s3
.LBB0_2:
	s_mul_i32 s3, s18, s5
	s_mul_hi_u32 s5, s18, s4
	s_add_i32 s5, s5, s3
	s_mul_i32 s3, s18, s4
	s_sub_u32 s2, s2, s3
	s_subb_u32 s3, 0, s5
	s_load_dwordx4 s[4:7], s[6:7], 0x8
	v_mov_b32_e32 v1, s2
	s_lshl_b64 s[20:21], s[2:3], 5
	v_alignbit_b32 v1, s3, v1, 27
	s_load_dwordx2 s[12:13], s[0:1], 0x0
	v_readfirstlane_b32 s2, v1
	s_waitcnt lgkmcnt(0)
	s_mul_i32 s3, s20, s5
	s_mul_hi_u32 s19, s20, s4
	s_mul_i32 s2, s2, s4
	s_add_i32 s3, s19, s3
	s_mul_i32 s7, s7, s18
	s_mul_hi_u32 s19, s6, s18
	s_add_i32 s3, s3, s2
	s_mul_i32 s2, s20, s4
	s_add_i32 s19, s19, s7
	s_mul_i32 s6, s6, s18
	s_add_u32 s6, s6, s2
	s_addc_u32 s7, s19, s3
	s_add_u32 s18, s20, 32
	s_addc_u32 s19, s21, 0
	v_mov_b64_e32 v[2:3], s[14:15]
	v_and_b32_e32 v13, 31, v0
	v_cmp_gt_u64_e32 vcc, s[18:19], v[2:3]
	v_or_b32_e32 v14, s20, v13
	v_mov_b32_e32 v15, s21
	v_cmp_le_u64_e64 s[2:3], s[18:19], v[2:3]
	v_lshrrev_b32_e32 v12, 5, v0
	s_cbranch_vccz .LBB0_8
; %bb.3:
	v_cmp_le_u64_e32 vcc, s[14:15], v[14:15]
                                        ; implicit-def: $vgpr19
                                        ; implicit-def: $vgpr80
                                        ; implicit-def: $vgpr81
                                        ; implicit-def: $vgpr82
                                        ; implicit-def: $vgpr83
                                        ; implicit-def: $vgpr84
                                        ; implicit-def: $vgpr85
                                        ; implicit-def: $vgpr18
                                        ; implicit-def: $vgpr16_vgpr17
                                        ; implicit-def: $vgpr20_vgpr21
	s_and_saveexec_b64 s[16:17], vcc
	s_xor_b64 s[16:17], exec, s[16:17]
                                        ; implicit-def: $vgpr22_vgpr23
                                        ; implicit-def: $vgpr24_vgpr25
	s_cbranch_execz .LBB0_5
; %bb.4:
	v_mov_b32_e32 v25, 0
	v_or_b32_e32 v19, 4, v12
	v_or_b32_e32 v80, 8, v12
	;; [unrolled: 1-line block ×8, first 2 shown]
	v_mov_b32_e32 v23, v25
	v_or_b32_e32 v16, 64, v12
	v_mov_b32_e32 v17, v25
	v_or_b32_e32 v20, 0x60, v12
	v_mov_b32_e32 v21, v25
.LBB0_5:
	s_or_saveexec_b64 s[16:17], s[16:17]
                                        ; implicit-def: $vgpr5
                                        ; implicit-def: $vgpr3
                                        ; implicit-def: $vgpr11
                                        ; implicit-def: $vgpr7
                                        ; implicit-def: $vgpr29
                                        ; implicit-def: $vgpr9
                                        ; implicit-def: $vgpr37
                                        ; implicit-def: $vgpr33
                                        ; implicit-def: $vgpr39
                                        ; implicit-def: $vgpr35
                                        ; implicit-def: $vgpr45
                                        ; implicit-def: $vgpr41
                                        ; implicit-def: $vgpr47
                                        ; implicit-def: $vgpr43
                                        ; implicit-def: $vgpr51
                                        ; implicit-def: $vgpr49
                                        ; implicit-def: $vgpr77
                                        ; implicit-def: $vgpr73
                                        ; implicit-def: $vgpr79
                                        ; implicit-def: $vgpr75
                                        ; implicit-def: $vgpr69
                                        ; implicit-def: $vgpr65
                                        ; implicit-def: $vgpr71
                                        ; implicit-def: $vgpr67
                                        ; implicit-def: $vgpr61
                                        ; implicit-def: $vgpr55
                                        ; implicit-def: $vgpr63
                                        ; implicit-def: $vgpr59
                                        ; implicit-def: $vgpr57
                                        ; implicit-def: $vgpr53
                                        ; implicit-def: $vgpr31
                                        ; implicit-def: $vgpr27
	s_xor_b64 exec, exec, s[16:17]
	s_cbranch_execz .LBB0_7
; %bb.6:
	v_mad_u64_u32 v[2:3], s[18:19], s4, v13, 0
	v_mov_b32_e32 v4, v3
	v_mad_u64_u32 v[4:5], s[18:19], s5, v13, v[4:5]
	v_mov_b32_e32 v3, v4
	;; [unrolled: 2-line block ×3, first 2 shown]
	v_mad_u64_u32 v[6:7], s[18:19], s9, v12, v[6:7]
	s_lshl_b64 s[18:19], s[6:7], 3
	s_add_u32 s18, s10, s18
	s_addc_u32 s19, s11, s19
	v_or_b32_e32 v16, 64, v12
	v_mov_b32_e32 v5, v6
	v_lshl_add_u64 v[22:23], v[2:3], 3, s[18:19]
	v_mad_u64_u32 v[2:3], s[18:19], s8, v16, 0
	v_lshl_add_u64 v[6:7], v[4:5], 3, v[22:23]
	v_mov_b32_e32 v4, v3
	v_mad_u64_u32 v[4:5], s[18:19], s9, v16, v[4:5]
	v_mov_b32_e32 v3, v4
	v_or_b32_e32 v19, 4, v12
	v_lshl_add_u64 v[8:9], v[2:3], 3, v[22:23]
	v_mad_u64_u32 v[2:3], s[18:19], s8, v19, 0
	v_mov_b32_e32 v4, v3
	v_mad_u64_u32 v[4:5], s[18:19], s9, v19, v[4:5]
	v_mov_b32_e32 v3, v4
	v_or_b32_e32 v1, 0x44, v12
	v_lshl_add_u64 v[10:11], v[2:3], 3, v[22:23]
	v_mad_u64_u32 v[2:3], s[18:19], s8, v1, 0
	v_mov_b32_e32 v4, v3
	v_mad_u64_u32 v[4:5], s[18:19], s9, v1, v[4:5]
	v_mov_b32_e32 v3, v4
	v_or_b32_e32 v80, 8, v12
	v_lshl_add_u64 v[20:21], v[2:3], 3, v[22:23]
	global_load_dwordx2 v[26:27], v[6:7], off
	global_load_dwordx2 v[30:31], v[8:9], off
	;; [unrolled: 1-line block ×4, first 2 shown]
	v_mad_u64_u32 v[6:7], s[18:19], s8, v80, 0
	v_mov_b32_e32 v8, v7
	v_mad_u64_u32 v[8:9], s[18:19], s9, v80, v[8:9]
	v_mov_b32_e32 v7, v8
	v_or_b32_e32 v1, 0x48, v12
	v_lshl_add_u64 v[20:21], v[6:7], 3, v[22:23]
	v_mad_u64_u32 v[6:7], s[18:19], s8, v1, 0
	v_mov_b32_e32 v8, v7
	v_mad_u64_u32 v[8:9], s[18:19], s9, v1, v[8:9]
	v_mov_b32_e32 v7, v8
	v_or_b32_e32 v81, 12, v12
	v_lshl_add_u64 v[24:25], v[6:7], 3, v[22:23]
	;; [unrolled: 6-line block ×4, first 2 shown]
	global_load_dwordx2 v[6:7], v[20:21], off
	global_load_dwordx2 v[10:11], v[24:25], off
	;; [unrolled: 1-line block ×4, first 2 shown]
	v_mad_u64_u32 v[20:21], s[18:19], s8, v82, 0
	v_mov_b32_e32 v18, v21
	v_mad_u64_u32 v[24:25], s[18:19], s9, v82, v[18:19]
	v_or_b32_e32 v1, 0x50, v12
	v_mov_b32_e32 v21, v24
	v_mad_u64_u32 v[24:25], s[18:19], s8, v1, 0
	v_mov_b32_e32 v18, v25
	v_mad_u64_u32 v[32:33], s[18:19], s9, v1, v[18:19]
	v_or_b32_e32 v83, 20, v12
	v_mov_b32_e32 v25, v32
	v_mad_u64_u32 v[32:33], s[18:19], s8, v83, 0
	v_mov_b32_e32 v18, v33
	v_mad_u64_u32 v[34:35], s[18:19], s9, v83, v[18:19]
	v_mov_b32_e32 v33, v34
	v_or_b32_e32 v1, 0x54, v12
	v_lshl_add_u64 v[40:41], v[32:33], 3, v[22:23]
	v_mad_u64_u32 v[32:33], s[18:19], s8, v1, 0
	v_mov_b32_e32 v18, v33
	v_mad_u64_u32 v[34:35], s[18:19], s9, v1, v[18:19]
	v_lshl_add_u64 v[20:21], v[20:21], 3, v[22:23]
	v_mov_b32_e32 v33, v34
	v_or_b32_e32 v84, 24, v12
	v_lshl_add_u64 v[24:25], v[24:25], 3, v[22:23]
	v_lshl_add_u64 v[42:43], v[32:33], 3, v[22:23]
	global_load_dwordx2 v[32:33], v[20:21], off
	global_load_dwordx2 v[36:37], v[24:25], off
	;; [unrolled: 1-line block ×4, first 2 shown]
	v_mad_u64_u32 v[20:21], s[18:19], s8, v84, 0
	v_mov_b32_e32 v18, v21
	v_mad_u64_u32 v[24:25], s[18:19], s9, v84, v[18:19]
	v_or_b32_e32 v1, 0x58, v12
	v_mov_b32_e32 v21, v24
	v_mad_u64_u32 v[24:25], s[18:19], s8, v1, 0
	v_mov_b32_e32 v18, v25
	v_mad_u64_u32 v[40:41], s[18:19], s9, v1, v[18:19]
	v_or_b32_e32 v85, 28, v12
	v_mov_b32_e32 v25, v40
	v_mad_u64_u32 v[40:41], s[18:19], s8, v85, 0
	v_mov_b32_e32 v18, v41
	v_mad_u64_u32 v[42:43], s[18:19], s9, v85, v[18:19]
	v_mov_b32_e32 v41, v42
	v_or_b32_e32 v1, 0x5c, v12
	v_lshl_add_u64 v[48:49], v[40:41], 3, v[22:23]
	v_mad_u64_u32 v[40:41], s[18:19], s8, v1, 0
	v_mov_b32_e32 v18, v41
	v_mad_u64_u32 v[42:43], s[18:19], s9, v1, v[18:19]
	v_lshl_add_u64 v[20:21], v[20:21], 3, v[22:23]
	v_mov_b32_e32 v41, v42
	v_or_b32_e32 v18, 32, v12
	v_lshl_add_u64 v[24:25], v[24:25], 3, v[22:23]
	v_lshl_add_u64 v[50:51], v[40:41], 3, v[22:23]
	global_load_dwordx2 v[40:41], v[20:21], off
	global_load_dwordx2 v[44:45], v[24:25], off
	global_load_dwordx2 v[42:43], v[48:49], off
	global_load_dwordx2 v[46:47], v[50:51], off
	v_mad_u64_u32 v[20:21], s[18:19], s8, v18, 0
	v_mov_b32_e32 v24, v21
	v_mad_u64_u32 v[24:25], s[18:19], s9, v18, v[24:25]
	v_mov_b32_e32 v21, v24
	v_lshl_add_u64 v[24:25], v[20:21], 3, v[22:23]
	v_or_b32_e32 v20, 0x60, v12
	v_mad_u64_u32 v[48:49], s[18:19], s8, v20, 0
	v_mov_b32_e32 v50, v49
	v_mad_u64_u32 v[50:51], s[18:19], s9, v20, v[50:51]
	v_mov_b32_e32 v49, v50
	v_or_b32_e32 v1, 36, v12
	v_lshl_add_u64 v[54:55], v[48:49], 3, v[22:23]
	v_mad_u64_u32 v[48:49], s[18:19], s8, v1, 0
	v_mov_b32_e32 v50, v49
	v_mad_u64_u32 v[50:51], s[18:19], s9, v1, v[50:51]
	v_mov_b32_e32 v49, v50
	v_or_b32_e32 v1, 0x64, v12
	v_lshl_add_u64 v[58:59], v[48:49], 3, v[22:23]
	;; [unrolled: 6-line block ×3, first 2 shown]
	global_load_dwordx2 v[48:49], v[24:25], off
	global_load_dwordx2 v[50:51], v[54:55], off
	;; [unrolled: 1-line block ×4, first 2 shown]
	v_mad_u64_u32 v[24:25], s[18:19], s8, v1, 0
	v_mov_b32_e32 v54, v25
	v_mad_u64_u32 v[54:55], s[18:19], s9, v1, v[54:55]
	v_or_b32_e32 v1, 0x68, v12
	v_mov_b32_e32 v25, v54
	v_mad_u64_u32 v[54:55], s[18:19], s8, v1, 0
	v_mov_b32_e32 v58, v55
	v_mad_u64_u32 v[58:59], s[18:19], s9, v1, v[58:59]
	v_mov_b32_e32 v55, v58
	v_or_b32_e32 v1, 44, v12
	v_lshl_add_u64 v[64:65], v[54:55], 3, v[22:23]
	v_mad_u64_u32 v[54:55], s[18:19], s8, v1, 0
	v_mov_b32_e32 v58, v55
	v_mad_u64_u32 v[58:59], s[18:19], s9, v1, v[58:59]
	v_mov_b32_e32 v55, v58
	v_or_b32_e32 v1, 0x6c, v12
	v_lshl_add_u64 v[66:67], v[54:55], 3, v[22:23]
	v_mad_u64_u32 v[54:55], s[18:19], s8, v1, 0
	v_mov_b32_e32 v58, v55
	v_mad_u64_u32 v[58:59], s[18:19], s9, v1, v[58:59]
	v_lshl_add_u64 v[24:25], v[24:25], 3, v[22:23]
	v_mov_b32_e32 v55, v58
	v_or_b32_e32 v1, 48, v12
	v_lshl_add_u64 v[68:69], v[54:55], 3, v[22:23]
	global_load_dwordx2 v[58:59], v[24:25], off
	global_load_dwordx2 v[62:63], v[64:65], off
	;; [unrolled: 1-line block ×4, first 2 shown]
	v_mad_u64_u32 v[24:25], s[18:19], s8, v1, 0
	v_mov_b32_e32 v64, v25
	v_mad_u64_u32 v[64:65], s[18:19], s9, v1, v[64:65]
	v_or_b32_e32 v1, 0x70, v12
	v_mov_b32_e32 v25, v64
	v_mad_u64_u32 v[64:65], s[18:19], s8, v1, 0
	v_mov_b32_e32 v66, v65
	v_mad_u64_u32 v[66:67], s[18:19], s9, v1, v[66:67]
	v_mov_b32_e32 v65, v66
	v_or_b32_e32 v1, 52, v12
	v_lshl_add_u64 v[72:73], v[64:65], 3, v[22:23]
	v_mad_u64_u32 v[64:65], s[18:19], s8, v1, 0
	v_mov_b32_e32 v66, v65
	v_mad_u64_u32 v[66:67], s[18:19], s9, v1, v[66:67]
	v_mov_b32_e32 v65, v66
	v_or_b32_e32 v1, 0x74, v12
	v_lshl_add_u64 v[74:75], v[64:65], 3, v[22:23]
	v_mad_u64_u32 v[64:65], s[18:19], s8, v1, 0
	v_mov_b32_e32 v66, v65
	v_mad_u64_u32 v[66:67], s[18:19], s9, v1, v[66:67]
	v_lshl_add_u64 v[24:25], v[24:25], 3, v[22:23]
	v_mov_b32_e32 v65, v66
	v_or_b32_e32 v1, 56, v12
	v_lshl_add_u64 v[76:77], v[64:65], 3, v[22:23]
	global_load_dwordx2 v[66:67], v[24:25], off
	global_load_dwordx2 v[70:71], v[72:73], off
	;; [unrolled: 1-line block ×4, first 2 shown]
	v_mad_u64_u32 v[24:25], s[18:19], s8, v1, 0
	v_mov_b32_e32 v72, v25
	v_mad_u64_u32 v[72:73], s[18:19], s9, v1, v[72:73]
	v_or_b32_e32 v1, 0x78, v12
	v_mov_b32_e32 v25, v72
	v_mad_u64_u32 v[72:73], s[18:19], s8, v1, 0
	v_mov_b32_e32 v74, v73
	v_mad_u64_u32 v[74:75], s[18:19], s9, v1, v[74:75]
	v_mov_b32_e32 v73, v74
	v_or_b32_e32 v1, 60, v12
	v_lshl_add_u64 v[86:87], v[72:73], 3, v[22:23]
	v_mad_u64_u32 v[72:73], s[18:19], s8, v1, 0
	v_mov_b32_e32 v74, v73
	v_mad_u64_u32 v[74:75], s[18:19], s9, v1, v[74:75]
	v_mov_b32_e32 v73, v74
	v_or_b32_e32 v1, 0x7c, v12
	v_lshl_add_u64 v[88:89], v[72:73], 3, v[22:23]
	v_mad_u64_u32 v[72:73], s[18:19], s8, v1, 0
	v_mov_b32_e32 v74, v73
	v_mad_u64_u32 v[74:75], s[18:19], s9, v1, v[74:75]
	v_lshl_add_u64 v[24:25], v[24:25], 3, v[22:23]
	v_mov_b32_e32 v73, v74
	v_lshl_add_u64 v[22:23], v[72:73], 3, v[22:23]
	global_load_dwordx2 v[74:75], v[24:25], off
	global_load_dwordx2 v[78:79], v[86:87], off
	;; [unrolled: 1-line block ×4, first 2 shown]
	v_mov_b32_e32 v25, 0
	v_mov_b32_e32 v17, v25
	;; [unrolled: 1-line block ×4, first 2 shown]
.LBB0_7:
	s_or_b64 exec, exec, s[16:17]
	s_cbranch_execz .LBB0_9
	s_branch .LBB0_10
.LBB0_8:
                                        ; implicit-def: $vgpr5
                                        ; implicit-def: $vgpr3
                                        ; implicit-def: $vgpr11
                                        ; implicit-def: $vgpr7
                                        ; implicit-def: $vgpr29
                                        ; implicit-def: $vgpr9
                                        ; implicit-def: $vgpr37
                                        ; implicit-def: $vgpr33
                                        ; implicit-def: $vgpr39
                                        ; implicit-def: $vgpr35
                                        ; implicit-def: $vgpr45
                                        ; implicit-def: $vgpr41
                                        ; implicit-def: $vgpr47
                                        ; implicit-def: $vgpr43
                                        ; implicit-def: $vgpr51
                                        ; implicit-def: $vgpr49
                                        ; implicit-def: $vgpr77
                                        ; implicit-def: $vgpr73
                                        ; implicit-def: $vgpr79
                                        ; implicit-def: $vgpr75
                                        ; implicit-def: $vgpr69
                                        ; implicit-def: $vgpr65
                                        ; implicit-def: $vgpr71
                                        ; implicit-def: $vgpr67
                                        ; implicit-def: $vgpr61
                                        ; implicit-def: $vgpr55
                                        ; implicit-def: $vgpr63
                                        ; implicit-def: $vgpr19
                                        ; implicit-def: $vgpr80
                                        ; implicit-def: $vgpr81
                                        ; implicit-def: $vgpr82
                                        ; implicit-def: $vgpr83
                                        ; implicit-def: $vgpr84
                                        ; implicit-def: $vgpr85
                                        ; implicit-def: $vgpr59
                                        ; implicit-def: $vgpr57
                                        ; implicit-def: $vgpr53
                                        ; implicit-def: $vgpr31
                                        ; implicit-def: $vgpr27
                                        ; implicit-def: $vgpr18
                                        ; implicit-def: $vgpr16_vgpr17
                                        ; implicit-def: $vgpr20_vgpr21
                                        ; implicit-def: $vgpr22_vgpr23
                                        ; implicit-def: $vgpr24_vgpr25
	s_andn2_b64 vcc, exec, s[16:17]
	s_cbranch_vccnz .LBB0_10
.LBB0_9:
	s_waitcnt vmcnt(29)
	v_mad_u64_u32 v[2:3], s[16:17], s4, v13, 0
	s_waitcnt vmcnt(28)
	v_mov_b32_e32 v4, v3
	v_mad_u64_u32 v[4:5], s[16:17], s5, v13, v[4:5]
	v_mov_b32_e32 v3, v4
	v_mad_u64_u32 v[4:5], s[16:17], s8, v12, 0
	s_waitcnt vmcnt(27)
	v_mov_b32_e32 v6, v5
	v_mad_u64_u32 v[6:7], s[16:17], s9, v12, v[6:7]
	s_lshl_b64 s[16:17], s[6:7], 3
	s_add_u32 s16, s10, s16
	s_addc_u32 s17, s11, s17
	v_or_b32_e32 v16, 64, v12
	v_mov_b32_e32 v5, v6
	v_lshl_add_u64 v[22:23], v[2:3], 3, s[16:17]
	v_mad_u64_u32 v[2:3], s[16:17], s8, v16, 0
	v_lshl_add_u64 v[6:7], v[4:5], 3, v[22:23]
	v_mov_b32_e32 v4, v3
	v_mad_u64_u32 v[4:5], s[16:17], s9, v16, v[4:5]
	v_mov_b32_e32 v3, v4
	v_or_b32_e32 v19, 4, v12
	s_waitcnt vmcnt(25)
	v_lshl_add_u64 v[8:9], v[2:3], 3, v[22:23]
	v_mad_u64_u32 v[2:3], s[16:17], s8, v19, 0
	v_mov_b32_e32 v4, v3
	v_mad_u64_u32 v[4:5], s[16:17], s9, v19, v[4:5]
	v_mov_b32_e32 v3, v4
	v_or_b32_e32 v1, 0x44, v12
	v_lshl_add_u64 v[10:11], v[2:3], 3, v[22:23]
	v_mad_u64_u32 v[2:3], s[16:17], s8, v1, 0
	v_mov_b32_e32 v4, v3
	v_mad_u64_u32 v[4:5], s[16:17], s9, v1, v[4:5]
	v_mov_b32_e32 v3, v4
	v_or_b32_e32 v80, 8, v12
	v_lshl_add_u64 v[20:21], v[2:3], 3, v[22:23]
	global_load_dwordx2 v[26:27], v[6:7], off
	global_load_dwordx2 v[30:31], v[8:9], off
	;; [unrolled: 1-line block ×4, first 2 shown]
	v_mad_u64_u32 v[6:7], s[16:17], s8, v80, 0
	v_mov_b32_e32 v8, v7
	v_mad_u64_u32 v[8:9], s[16:17], s9, v80, v[8:9]
	v_mov_b32_e32 v7, v8
	v_or_b32_e32 v1, 0x48, v12
	v_lshl_add_u64 v[20:21], v[6:7], 3, v[22:23]
	v_mad_u64_u32 v[6:7], s[16:17], s8, v1, 0
	v_mov_b32_e32 v8, v7
	v_mad_u64_u32 v[8:9], s[16:17], s9, v1, v[8:9]
	v_mov_b32_e32 v7, v8
	v_or_b32_e32 v81, 12, v12
	v_lshl_add_u64 v[24:25], v[6:7], 3, v[22:23]
	v_mad_u64_u32 v[6:7], s[16:17], s8, v81, 0
	v_mov_b32_e32 v8, v7
	v_mad_u64_u32 v[8:9], s[16:17], s9, v81, v[8:9]
	v_mov_b32_e32 v7, v8
	v_or_b32_e32 v1, 0x4c, v12
	s_waitcnt vmcnt(27)
	v_lshl_add_u64 v[32:33], v[6:7], 3, v[22:23]
	v_mad_u64_u32 v[6:7], s[16:17], s8, v1, 0
	v_mov_b32_e32 v8, v7
	v_mad_u64_u32 v[8:9], s[16:17], s9, v1, v[8:9]
	v_mov_b32_e32 v7, v8
	v_or_b32_e32 v82, 16, v12
	s_waitcnt vmcnt(25)
	v_lshl_add_u64 v[34:35], v[6:7], 3, v[22:23]
	global_load_dwordx2 v[6:7], v[20:21], off
	global_load_dwordx2 v[10:11], v[24:25], off
	;; [unrolled: 1-line block ×4, first 2 shown]
	v_mad_u64_u32 v[20:21], s[16:17], s8, v82, 0
	v_mov_b32_e32 v18, v21
	v_mad_u64_u32 v[24:25], s[16:17], s9, v82, v[18:19]
	v_or_b32_e32 v1, 0x50, v12
	v_mov_b32_e32 v21, v24
	v_mad_u64_u32 v[24:25], s[16:17], s8, v1, 0
	v_mov_b32_e32 v18, v25
	v_mad_u64_u32 v[32:33], s[16:17], s9, v1, v[18:19]
	v_or_b32_e32 v83, 20, v12
	v_mov_b32_e32 v25, v32
	v_mad_u64_u32 v[32:33], s[16:17], s8, v83, 0
	v_mov_b32_e32 v18, v33
	v_mad_u64_u32 v[34:35], s[16:17], s9, v83, v[18:19]
	v_mov_b32_e32 v33, v34
	v_or_b32_e32 v1, 0x54, v12
	s_waitcnt vmcnt(27)
	v_lshl_add_u64 v[40:41], v[32:33], 3, v[22:23]
	v_mad_u64_u32 v[32:33], s[16:17], s8, v1, 0
	v_mov_b32_e32 v18, v33
	v_mad_u64_u32 v[34:35], s[16:17], s9, v1, v[18:19]
	v_lshl_add_u64 v[20:21], v[20:21], 3, v[22:23]
	v_mov_b32_e32 v33, v34
	v_or_b32_e32 v84, 24, v12
	v_lshl_add_u64 v[24:25], v[24:25], 3, v[22:23]
	s_waitcnt vmcnt(25)
	v_lshl_add_u64 v[42:43], v[32:33], 3, v[22:23]
	global_load_dwordx2 v[32:33], v[20:21], off
	global_load_dwordx2 v[36:37], v[24:25], off
	;; [unrolled: 1-line block ×4, first 2 shown]
	v_mad_u64_u32 v[20:21], s[16:17], s8, v84, 0
	v_mov_b32_e32 v18, v21
	v_mad_u64_u32 v[24:25], s[16:17], s9, v84, v[18:19]
	v_or_b32_e32 v1, 0x58, v12
	v_mov_b32_e32 v21, v24
	v_mad_u64_u32 v[24:25], s[16:17], s8, v1, 0
	v_mov_b32_e32 v18, v25
	v_mad_u64_u32 v[40:41], s[16:17], s9, v1, v[18:19]
	v_or_b32_e32 v85, 28, v12
	v_mov_b32_e32 v25, v40
	v_mad_u64_u32 v[40:41], s[16:17], s8, v85, 0
	v_mov_b32_e32 v18, v41
	v_mad_u64_u32 v[42:43], s[16:17], s9, v85, v[18:19]
	v_mov_b32_e32 v41, v42
	v_or_b32_e32 v1, 0x5c, v12
	s_waitcnt vmcnt(27)
	v_lshl_add_u64 v[48:49], v[40:41], 3, v[22:23]
	v_mad_u64_u32 v[40:41], s[16:17], s8, v1, 0
	v_mov_b32_e32 v18, v41
	v_mad_u64_u32 v[42:43], s[16:17], s9, v1, v[18:19]
	v_lshl_add_u64 v[20:21], v[20:21], 3, v[22:23]
	v_mov_b32_e32 v41, v42
	v_or_b32_e32 v18, 32, v12
	v_lshl_add_u64 v[24:25], v[24:25], 3, v[22:23]
	s_waitcnt vmcnt(26)
	v_lshl_add_u64 v[50:51], v[40:41], 3, v[22:23]
	global_load_dwordx2 v[40:41], v[20:21], off
	global_load_dwordx2 v[44:45], v[24:25], off
	;; [unrolled: 1-line block ×4, first 2 shown]
	v_mad_u64_u32 v[20:21], s[16:17], s8, v18, 0
	v_mov_b32_e32 v24, v21
	v_mad_u64_u32 v[24:25], s[16:17], s9, v18, v[24:25]
	v_mov_b32_e32 v21, v24
	v_lshl_add_u64 v[24:25], v[20:21], 3, v[22:23]
	v_or_b32_e32 v20, 0x60, v12
	v_mad_u64_u32 v[48:49], s[16:17], s8, v20, 0
	v_mov_b32_e32 v50, v49
	v_mad_u64_u32 v[50:51], s[16:17], s9, v20, v[50:51]
	v_mov_b32_e32 v49, v50
	v_or_b32_e32 v1, 36, v12
	s_waitcnt vmcnt(25)
	v_lshl_add_u64 v[54:55], v[48:49], 3, v[22:23]
	v_mad_u64_u32 v[48:49], s[16:17], s8, v1, 0
	v_mov_b32_e32 v50, v49
	v_mad_u64_u32 v[50:51], s[16:17], s9, v1, v[50:51]
	v_mov_b32_e32 v49, v50
	v_or_b32_e32 v1, 0x64, v12
	v_lshl_add_u64 v[58:59], v[48:49], 3, v[22:23]
	v_mad_u64_u32 v[48:49], s[16:17], s8, v1, 0
	v_mov_b32_e32 v50, v49
	v_mad_u64_u32 v[50:51], s[16:17], s9, v1, v[50:51]
	v_mov_b32_e32 v49, v50
	v_or_b32_e32 v1, 40, v12
	s_waitcnt vmcnt(24)
	v_lshl_add_u64 v[60:61], v[48:49], 3, v[22:23]
	global_load_dwordx2 v[48:49], v[24:25], off
	global_load_dwordx2 v[50:51], v[54:55], off
	;; [unrolled: 1-line block ×4, first 2 shown]
	v_mad_u64_u32 v[24:25], s[16:17], s8, v1, 0
	v_mov_b32_e32 v54, v25
	v_mad_u64_u32 v[54:55], s[16:17], s9, v1, v[54:55]
	v_or_b32_e32 v1, 0x68, v12
	v_mov_b32_e32 v25, v54
	v_mad_u64_u32 v[54:55], s[16:17], s8, v1, 0
	v_mov_b32_e32 v58, v55
	v_mad_u64_u32 v[58:59], s[16:17], s9, v1, v[58:59]
	v_mov_b32_e32 v55, v58
	v_or_b32_e32 v1, 44, v12
	s_waitcnt vmcnt(25)
	v_lshl_add_u64 v[64:65], v[54:55], 3, v[22:23]
	v_mad_u64_u32 v[54:55], s[16:17], s8, v1, 0
	v_mov_b32_e32 v58, v55
	v_mad_u64_u32 v[58:59], s[16:17], s9, v1, v[58:59]
	v_mov_b32_e32 v55, v58
	v_or_b32_e32 v1, 0x6c, v12
	v_lshl_add_u64 v[66:67], v[54:55], 3, v[22:23]
	v_mad_u64_u32 v[54:55], s[16:17], s8, v1, 0
	v_mov_b32_e32 v58, v55
	v_mad_u64_u32 v[58:59], s[16:17], s9, v1, v[58:59]
	v_lshl_add_u64 v[24:25], v[24:25], 3, v[22:23]
	v_mov_b32_e32 v55, v58
	v_or_b32_e32 v1, 48, v12
	s_waitcnt vmcnt(24)
	v_lshl_add_u64 v[68:69], v[54:55], 3, v[22:23]
	global_load_dwordx2 v[58:59], v[24:25], off
	global_load_dwordx2 v[62:63], v[64:65], off
	;; [unrolled: 1-line block ×4, first 2 shown]
	v_mad_u64_u32 v[24:25], s[16:17], s8, v1, 0
	v_mov_b32_e32 v64, v25
	v_mad_u64_u32 v[64:65], s[16:17], s9, v1, v[64:65]
	v_or_b32_e32 v1, 0x70, v12
	v_mov_b32_e32 v25, v64
	v_mad_u64_u32 v[64:65], s[16:17], s8, v1, 0
	v_mov_b32_e32 v66, v65
	v_mad_u64_u32 v[66:67], s[16:17], s9, v1, v[66:67]
	v_mov_b32_e32 v65, v66
	v_or_b32_e32 v1, 52, v12
	s_waitcnt vmcnt(25)
	v_lshl_add_u64 v[72:73], v[64:65], 3, v[22:23]
	v_mad_u64_u32 v[64:65], s[16:17], s8, v1, 0
	v_mov_b32_e32 v66, v65
	v_mad_u64_u32 v[66:67], s[16:17], s9, v1, v[66:67]
	v_mov_b32_e32 v65, v66
	v_or_b32_e32 v1, 0x74, v12
	v_lshl_add_u64 v[74:75], v[64:65], 3, v[22:23]
	v_mad_u64_u32 v[64:65], s[16:17], s8, v1, 0
	v_mov_b32_e32 v66, v65
	v_mad_u64_u32 v[66:67], s[16:17], s9, v1, v[66:67]
	v_lshl_add_u64 v[24:25], v[24:25], 3, v[22:23]
	v_mov_b32_e32 v65, v66
	v_or_b32_e32 v1, 56, v12
	s_waitcnt vmcnt(24)
	v_lshl_add_u64 v[76:77], v[64:65], 3, v[22:23]
	global_load_dwordx2 v[66:67], v[24:25], off
	global_load_dwordx2 v[70:71], v[72:73], off
	;; [unrolled: 1-line block ×4, first 2 shown]
	v_mad_u64_u32 v[24:25], s[16:17], s8, v1, 0
	v_mov_b32_e32 v72, v25
	v_mad_u64_u32 v[72:73], s[16:17], s9, v1, v[72:73]
	v_or_b32_e32 v1, 0x78, v12
	v_mov_b32_e32 v25, v72
	v_mad_u64_u32 v[72:73], s[16:17], s8, v1, 0
	v_mov_b32_e32 v74, v73
	v_mad_u64_u32 v[74:75], s[16:17], s9, v1, v[74:75]
	v_mov_b32_e32 v73, v74
	v_or_b32_e32 v1, 60, v12
	v_lshl_add_u64 v[86:87], v[72:73], 3, v[22:23]
	v_mad_u64_u32 v[72:73], s[16:17], s8, v1, 0
	v_mov_b32_e32 v74, v73
	v_mad_u64_u32 v[74:75], s[16:17], s9, v1, v[74:75]
	v_mov_b32_e32 v73, v74
	v_or_b32_e32 v1, 0x7c, v12
	v_lshl_add_u64 v[88:89], v[72:73], 3, v[22:23]
	v_mad_u64_u32 v[72:73], s[16:17], s8, v1, 0
	v_mov_b32_e32 v74, v73
	v_mad_u64_u32 v[74:75], s[16:17], s9, v1, v[74:75]
	v_lshl_add_u64 v[24:25], v[24:25], 3, v[22:23]
	v_mov_b32_e32 v73, v74
	v_lshl_add_u64 v[22:23], v[72:73], 3, v[22:23]
	global_load_dwordx2 v[74:75], v[24:25], off
	global_load_dwordx2 v[78:79], v[86:87], off
	;; [unrolled: 1-line block ×4, first 2 shown]
	v_mov_b32_e32 v25, 0
	v_mov_b32_e32 v17, v25
	;; [unrolled: 1-line block ×4, first 2 shown]
.LBB0_10:
	s_waitcnt vmcnt(30)
	v_pk_add_f32 v[30:31], v[26:27], v[30:31] neg_lo:[0,1] neg_hi:[0,1]
	s_waitcnt vmcnt(28)
	v_pk_add_f32 v[4:5], v[2:3], v[4:5] neg_lo:[0,1] neg_hi:[0,1]
	v_lshlrev_b32_e32 v1, 9, v12
	v_lshlrev_b32_e32 v87, 3, v13
	;; [unrolled: 1-line block ×3, first 2 shown]
	v_add3_u32 v1, 0, v1, v87
	v_pk_fma_f32 v[26:27], v[26:27], 2.0, v[30:31] op_sel_hi:[1,0,1] neg_lo:[0,0,1] neg_hi:[0,0,1]
	v_add3_u32 v22, 0, v22, v87
	v_pk_fma_f32 v[2:3], v[2:3], 2.0, v[4:5] op_sel_hi:[1,0,1] neg_lo:[0,0,1] neg_hi:[0,0,1]
	s_waitcnt vmcnt(26)
	v_pk_add_f32 v[10:11], v[6:7], v[10:11] neg_lo:[0,1] neg_hi:[0,1]
	ds_write2_b64 v1, v[26:27], v[30:31] offset1:32
	ds_write2_b64 v22, v[2:3], v[4:5] offset1:32
	v_lshlrev_b32_e32 v2, 9, v80
	v_add3_u32 v4, 0, v2, v87
	v_pk_fma_f32 v[2:3], v[6:7], 2.0, v[10:11] op_sel_hi:[1,0,1] neg_lo:[0,0,1] neg_hi:[0,0,1]
	s_waitcnt vmcnt(24)
	v_pk_add_f32 v[28:29], v[8:9], v[28:29] neg_lo:[0,1] neg_hi:[0,1]
	ds_write2_b64 v4, v[2:3], v[10:11] offset1:32
	v_lshlrev_b32_e32 v2, 9, v81
	v_add3_u32 v4, 0, v2, v87
	v_pk_fma_f32 v[2:3], v[8:9], 2.0, v[28:29] op_sel_hi:[1,0,1] neg_lo:[0,0,1] neg_hi:[0,0,1]
	s_waitcnt vmcnt(22)
	v_pk_add_f32 v[36:37], v[32:33], v[36:37] neg_lo:[0,1] neg_hi:[0,1]
	ds_write2_b64 v4, v[2:3], v[28:29] offset1:32
	v_lshlrev_b32_e32 v2, 9, v82
	v_add3_u32 v4, 0, v2, v87
	v_pk_fma_f32 v[2:3], v[32:33], 2.0, v[36:37] op_sel_hi:[1,0,1] neg_lo:[0,0,1] neg_hi:[0,0,1]
	s_waitcnt vmcnt(20)
	v_pk_add_f32 v[38:39], v[34:35], v[38:39] neg_lo:[0,1] neg_hi:[0,1]
	ds_write2_b64 v4, v[2:3], v[36:37] offset1:32
	v_lshlrev_b32_e32 v2, 9, v83
	v_add3_u32 v4, 0, v2, v87
	v_pk_fma_f32 v[2:3], v[34:35], 2.0, v[38:39] op_sel_hi:[1,0,1] neg_lo:[0,0,1] neg_hi:[0,0,1]
	s_waitcnt vmcnt(18)
	v_pk_add_f32 v[44:45], v[40:41], v[44:45] neg_lo:[0,1] neg_hi:[0,1]
	ds_write2_b64 v4, v[2:3], v[38:39] offset1:32
	v_lshlrev_b32_e32 v2, 9, v84
	v_add3_u32 v4, 0, v2, v87
	v_pk_fma_f32 v[2:3], v[40:41], 2.0, v[44:45] op_sel_hi:[1,0,1] neg_lo:[0,0,1] neg_hi:[0,0,1]
	s_waitcnt vmcnt(16)
	v_pk_add_f32 v[46:47], v[42:43], v[46:47] neg_lo:[0,1] neg_hi:[0,1]
	ds_write2_b64 v4, v[2:3], v[44:45] offset1:32
	v_lshlrev_b32_e32 v2, 9, v85
	v_add3_u32 v4, 0, v2, v87
	v_pk_fma_f32 v[2:3], v[42:43], 2.0, v[46:47] op_sel_hi:[1,0,1] neg_lo:[0,0,1] neg_hi:[0,0,1]
	s_waitcnt vmcnt(14)
	v_pk_add_f32 v[50:51], v[48:49], v[50:51] neg_lo:[0,1] neg_hi:[0,1]
	ds_write2_b64 v4, v[2:3], v[46:47] offset1:32
	v_lshlrev_b32_e32 v2, 9, v18
	s_waitcnt vmcnt(12)
	v_pk_add_f32 v[56:57], v[52:53], v[56:57] neg_lo:[0,1] neg_hi:[0,1]
	v_add3_u32 v24, 0, v2, v87
	v_pk_fma_f32 v[2:3], v[48:49], 2.0, v[50:51] op_sel_hi:[1,0,1] neg_lo:[0,0,1] neg_hi:[0,0,1]
	s_waitcnt vmcnt(10)
	v_pk_add_f32 v[62:63], v[58:59], v[62:63] neg_lo:[0,1] neg_hi:[0,1]
	ds_write2_b64 v24, v[2:3], v[50:51] offset1:32
	v_pk_fma_f32 v[2:3], v[52:53], 2.0, v[56:57] op_sel_hi:[1,0,1] neg_lo:[0,0,1] neg_hi:[0,0,1]
	v_add_u32_e32 v4, 0x4800, v1
	s_waitcnt vmcnt(8)
	v_pk_add_f32 v[60:61], v[54:55], v[60:61] neg_lo:[0,1] neg_hi:[0,1]
	ds_write2_b64 v4, v[2:3], v[56:57] offset1:32
	v_pk_fma_f32 v[2:3], v[58:59], 2.0, v[62:63] op_sel_hi:[1,0,1] neg_lo:[0,0,1] neg_hi:[0,0,1]
	v_add_u32_e32 v4, 0x5000, v1
	;; [unrolled: 5-line block ×5, first 2 shown]
	v_bfe_u32 v0, v0, 5, 1
	s_waitcnt vmcnt(0)
	v_pk_add_f32 v[76:77], v[72:73], v[76:77] neg_lo:[0,1] neg_hi:[0,1]
	ds_write2_b64 v4, v[2:3], v[68:69] offset1:32
	v_pk_fma_f32 v[2:3], v[74:75], 2.0, v[78:79] op_sel_hi:[1,0,1] neg_lo:[0,0,1] neg_hi:[0,0,1]
	v_add_u32_e32 v4, 0x7000, v1
	v_mul_u32_u24_e32 v0, 3, v0
	ds_write2_b64 v4, v[2:3], v[78:79] offset1:32
	v_pk_fma_f32 v[2:3], v[72:73], 2.0, v[76:77] op_sel_hi:[1,0,1] neg_lo:[0,0,1] neg_hi:[0,0,1]
	v_add_u32_e32 v1, 0x7800, v1
	v_lshlrev_b32_e32 v4, 3, v0
	ds_write2_b64 v1, v[2:3], v[76:77] offset1:32
	s_waitcnt lgkmcnt(0)
	s_barrier
	global_load_dwordx4 v[0:3], v4, s[12:13]
	global_load_dwordx2 v[70:71], v4, s[12:13] offset:16
	v_lshlrev_b32_e32 v4, 8, v12
	v_add3_u32 v73, 0, v4, v87
	ds_read2st64_b64 v[26:29], v73 offset0:28 offset1:30
	ds_read2st64_b64 v[34:37], v73 offset0:44 offset1:46
	;; [unrolled: 1-line block ×8, first 2 shown]
	s_movk_i32 s16, 0xf9
	v_lshlrev_b32_e32 v72, 2, v83
	v_cmp_gt_u64_e32 vcc, s[14:15], v[14:15]
	s_or_b64 s[2:3], s[2:3], vcc
	s_waitcnt vmcnt(1) lgkmcnt(7)
	v_pk_mul_f32 v[6:7], v[28:29], v[0:1] op_sel:[0,1]
	v_mov_b32_e32 v22, v3
	v_pk_fma_f32 v[4:5], v[28:29], v[0:1], v[6:7] op_sel:[0,0,1] op_sel_hi:[1,1,0] neg_lo:[0,0,1] neg_hi:[0,0,1]
	v_pk_fma_f32 v[32:33], v[28:29], v[0:1], v[6:7] op_sel:[0,0,1] op_sel_hi:[1,0,0]
	s_waitcnt lgkmcnt(6)
	v_pk_mul_f32 v[8:9], v[36:37], v[22:23] op_sel_hi:[1,0]
	s_waitcnt vmcnt(0) lgkmcnt(5)
	v_pk_mul_f32 v[10:11], v[46:47], v[70:71] op_sel:[0,1]
	v_pk_mul_f32 v[28:29], v[26:27], v[0:1] op_sel:[0,1]
	v_pk_fma_f32 v[6:7], v[36:37], v[2:3], v[8:9] op_sel:[0,0,1] op_sel_hi:[1,1,0] neg_lo:[0,0,1] neg_hi:[0,0,1]
	v_pk_fma_f32 v[36:37], v[36:37], v[2:3], v[8:9] op_sel:[0,0,1] op_sel_hi:[1,0,0]
	v_pk_fma_f32 v[8:9], v[46:47], v[70:71], v[10:11] op_sel:[0,0,1] op_sel_hi:[1,1,0] neg_lo:[0,0,1] neg_hi:[0,0,1]
	v_pk_fma_f32 v[38:39], v[46:47], v[70:71], v[10:11] op_sel:[0,0,1] op_sel_hi:[1,0,0]
	;; [unrolled: 2-line block ×3, first 2 shown]
	v_pk_mul_f32 v[28:29], v[34:35], v[22:23] op_sel_hi:[1,0]
	s_waitcnt lgkmcnt(3)
	v_pk_mul_f32 v[46:47], v[54:55], v[70:71] op_sel:[0,1]
	v_pk_fma_f32 v[26:27], v[34:35], v[2:3], v[28:29] op_sel:[0,0,1] op_sel_hi:[1,1,0] neg_lo:[0,0,1] neg_hi:[0,0,1]
	v_pk_fma_f32 v[42:43], v[34:35], v[2:3], v[28:29] op_sel:[0,0,1] op_sel_hi:[1,0,0]
	v_pk_mul_f32 v[28:29], v[44:45], v[70:71] op_sel:[0,1]
	v_pk_mul_f32 v[34:35], v[66:67], v[0:1] op_sel:[0,1]
	v_pk_fma_f32 v[30:31], v[44:45], v[70:71], v[28:29] op_sel:[0,0,1] op_sel_hi:[1,1,0] neg_lo:[0,0,1] neg_hi:[0,0,1]
	v_pk_fma_f32 v[48:49], v[44:45], v[70:71], v[28:29] op_sel:[0,0,1] op_sel_hi:[1,0,0]
	v_pk_fma_f32 v[28:29], v[66:67], v[0:1], v[34:35] op_sel:[0,0,1] op_sel_hi:[1,1,0] neg_lo:[0,0,1] neg_hi:[0,0,1]
	v_pk_fma_f32 v[50:51], v[66:67], v[0:1], v[34:35] op_sel:[0,0,1] op_sel_hi:[1,0,0]
	ds_read2st64_b64 v[66:69], v73 offset0:48 offset1:50
	v_pk_mul_f32 v[44:45], v[56:57], v[70:71] op_sel:[0,1]
	v_mov_b32_e32 v7, v37
	v_pk_fma_f32 v[34:35], v[56:57], v[70:71], v[44:45] op_sel:[0,0,1] op_sel_hi:[1,1,0] neg_lo:[0,0,1] neg_hi:[0,0,1]
	v_pk_fma_f32 v[52:53], v[56:57], v[70:71], v[44:45] op_sel:[0,0,1] op_sel_hi:[1,0,0]
	s_waitcnt lgkmcnt(3)
	v_pk_mul_f32 v[56:57], v[60:61], v[70:71] op_sel:[0,1]
	v_pk_fma_f32 v[44:45], v[54:55], v[70:71], v[46:47] op_sel:[0,0,1] op_sel_hi:[1,1,0] neg_lo:[0,0,1] neg_hi:[0,0,1]
	v_pk_fma_f32 v[54:55], v[54:55], v[70:71], v[46:47] op_sel:[0,0,1] op_sel_hi:[1,0,0]
	v_pk_fma_f32 v[46:47], v[60:61], v[70:71], v[56:57] op_sel:[0,0,1] op_sel_hi:[1,1,0] neg_lo:[0,0,1] neg_hi:[0,0,1]
	v_pk_fma_f32 v[62:63], v[60:61], v[70:71], v[56:57] op_sel:[0,0,1] op_sel_hi:[1,0,0]
	v_pk_mul_f32 v[60:61], v[58:59], v[70:71] op_sel:[0,1]
	v_mov_b32_e32 v9, v39
	v_pk_fma_f32 v[56:57], v[58:59], v[70:71], v[60:61] op_sel:[0,0,1] op_sel_hi:[1,1,0] neg_lo:[0,0,1] neg_hi:[0,0,1]
	v_pk_fma_f32 v[58:59], v[58:59], v[70:71], v[60:61] op_sel:[0,0,1] op_sel_hi:[1,0,0]
	s_waitcnt lgkmcnt(0)
	v_pk_mul_f32 v[60:61], v[68:69], v[70:71] op_sel:[0,1]
	v_mov_b32_e32 v27, v43
	v_pk_fma_f32 v[92:93], v[68:69], v[70:71], v[60:61] op_sel:[0,0,1] op_sel_hi:[1,1,0] neg_lo:[0,0,1] neg_hi:[0,0,1]
	v_pk_fma_f32 v[94:95], v[68:69], v[70:71], v[60:61] op_sel:[0,0,1] op_sel_hi:[1,0,0]
	v_pk_mul_f32 v[60:61], v[66:67], v[70:71] op_sel:[0,1]
	v_mov_b32_e32 v93, v95
	v_pk_fma_f32 v[96:97], v[66:67], v[70:71], v[60:61] op_sel:[0,0,1] op_sel_hi:[1,1,0] neg_lo:[0,0,1] neg_hi:[0,0,1]
	v_pk_fma_f32 v[98:99], v[66:67], v[70:71], v[60:61] op_sel:[0,0,1] op_sel_hi:[1,0,0]
	v_pk_mul_f32 v[66:67], v[64:65], v[0:1] op_sel:[0,1]
	v_pk_mul_f32 v[70:71], v[90:91], v[0:1] op_sel:[0,1]
	v_pk_fma_f32 v[60:61], v[64:65], v[0:1], v[66:67] op_sel:[0,0,1] op_sel_hi:[1,1,0] neg_lo:[0,0,1] neg_hi:[0,0,1]
	v_pk_fma_f32 v[100:101], v[64:65], v[0:1], v[66:67] op_sel:[0,0,1] op_sel_hi:[1,0,0]
	v_pk_mul_f32 v[64:65], v[76:77], v[22:23] op_sel_hi:[1,0]
	v_pk_fma_f32 v[106:107], v[90:91], v[0:1], v[70:71] op_sel:[0,0,1] op_sel_hi:[1,0,0]
	v_pk_fma_f32 v[66:67], v[76:77], v[2:3], v[64:65] op_sel:[0,0,1] op_sel_hi:[1,1,0] neg_lo:[0,0,1] neg_hi:[0,0,1]
	v_pk_fma_f32 v[102:103], v[76:77], v[2:3], v[64:65] op_sel:[0,0,1] op_sel_hi:[1,0,0]
	v_pk_mul_f32 v[64:65], v[74:75], v[22:23] op_sel_hi:[1,0]
	v_mov_b32_e32 v97, v99
	v_pk_fma_f32 v[68:69], v[74:75], v[2:3], v[64:65] op_sel:[0,0,1] op_sel_hi:[1,1,0] neg_lo:[0,0,1] neg_hi:[0,0,1]
	v_pk_fma_f32 v[104:105], v[74:75], v[2:3], v[64:65] op_sel:[0,0,1] op_sel_hi:[1,0,0]
	ds_read2st64_b64 v[74:77], v73 offset0:36 offset1:38
	v_pk_fma_f32 v[64:65], v[90:91], v[0:1], v[70:71] op_sel:[0,0,1] op_sel_hi:[1,1,0] neg_lo:[0,0,1] neg_hi:[0,0,1]
	v_pk_mul_f32 v[70:71], v[88:89], v[0:1] op_sel:[0,1]
	v_mov_b32_e32 v69, v105
	v_pk_fma_f32 v[108:109], v[88:89], v[0:1], v[70:71] op_sel:[0,0,1] op_sel_hi:[1,1,0] neg_lo:[0,0,1] neg_hi:[0,0,1]
	v_pk_fma_f32 v[110:111], v[88:89], v[0:1], v[70:71] op_sel:[0,0,1] op_sel_hi:[1,0,0]
	ds_read2st64_b64 v[88:91], v73 offset0:32 offset1:34
	s_waitcnt lgkmcnt(1)
	v_pk_mul_f32 v[78:79], v[76:77], v[22:23] op_sel_hi:[1,0]
	v_mov_b32_e32 v109, v111
	v_pk_fma_f32 v[70:71], v[76:77], v[2:3], v[78:79] op_sel:[0,0,1] op_sel_hi:[1,1,0] neg_lo:[0,0,1] neg_hi:[0,0,1]
	v_pk_fma_f32 v[112:113], v[76:77], v[2:3], v[78:79] op_sel:[0,0,1] op_sel_hi:[1,0,0]
	v_pk_mul_f32 v[76:77], v[74:75], v[22:23] op_sel_hi:[1,0]
	v_mov_b32_e32 v71, v113
	v_pk_fma_f32 v[114:115], v[74:75], v[2:3], v[76:77] op_sel:[0,0,1] op_sel_hi:[1,1,0] neg_lo:[0,0,1] neg_hi:[0,0,1]
	v_pk_fma_f32 v[116:117], v[74:75], v[2:3], v[76:77] op_sel:[0,0,1] op_sel_hi:[1,0,0]
	s_waitcnt lgkmcnt(0)
	v_pk_mul_f32 v[74:75], v[90:91], v[22:23] op_sel_hi:[1,0]
	v_mov_b32_e32 v115, v117
	v_pk_fma_f32 v[118:119], v[90:91], v[2:3], v[74:75] op_sel:[0,0,1] op_sel_hi:[1,1,0] neg_lo:[0,0,1] neg_hi:[0,0,1]
	v_pk_fma_f32 v[90:91], v[90:91], v[2:3], v[74:75] op_sel:[0,0,1] op_sel_hi:[1,0,0]
	v_pk_mul_f32 v[74:75], v[88:89], v[22:23] op_sel_hi:[1,0]
	v_mov_b32_e32 v119, v91
	v_pk_fma_f32 v[120:121], v[88:89], v[2:3], v[74:75] op_sel:[0,0,1] op_sel_hi:[1,1,0] neg_lo:[0,0,1] neg_hi:[0,0,1]
	v_pk_fma_f32 v[2:3], v[88:89], v[2:3], v[74:75] op_sel:[0,0,1] op_sel_hi:[1,0,0]
	v_mov_b32_e32 v57, v59
	v_lshlrev_b32_e32 v2, 8, v18
	v_sub_u32_e32 v78, v24, v2
	ds_read_b64 v[74:75], v78
	v_lshlrev_b32_e32 v2, 8, v19
	v_add3_u32 v79, 0, v2, v87
	v_lshlrev_b32_e32 v2, 8, v81
	v_add3_u32 v62, 0, v2, v87
	s_waitcnt lgkmcnt(0)
	v_pk_mul_f32 v[76:77], v[74:75], v[0:1] op_sel:[0,1]
	ds_read_b64 v[88:89], v62
	ds_read_b64 v[122:123], v79
	v_pk_fma_f32 v[124:125], v[74:75], v[0:1], v[76:77] op_sel:[0,0,1] op_sel_hi:[1,1,0] neg_lo:[0,0,1] neg_hi:[0,0,1]
	v_pk_fma_f32 v[126:127], v[74:75], v[0:1], v[76:77] op_sel:[0,0,1] op_sel_hi:[1,0,0]
	ds_read2st64_b64 v[74:77], v73 offset1:18
	v_mov_b32_e32 v125, v127
	v_mov_b32_e32 v121, v3
	v_lshlrev_b32_e32 v24, 2, v84
	v_mov_b32_e32 v47, v63
	s_waitcnt lgkmcnt(0)
	v_pk_mul_f32 v[128:129], v[76:77], v[0:1] op_sel:[0,1]
	v_pk_add_f32 v[2:3], v[74:75], v[120:121] neg_lo:[0,1] neg_hi:[0,1]
	v_pk_fma_f32 v[130:131], v[76:77], v[0:1], v[128:129] op_sel:[0,0,1] op_sel_hi:[1,1,0] neg_lo:[0,0,1] neg_hi:[0,0,1]
	v_pk_fma_f32 v[0:1], v[76:77], v[0:1], v[128:129] op_sel:[0,0,1] op_sel_hi:[1,0,0]
	v_pk_add_f32 v[76:77], v[124:125], v[96:97] neg_lo:[0,1] neg_hi:[0,1]
	v_lshlrev_b32_e32 v0, 8, v80
	v_add3_u32 v58, 0, v0, v87
	v_lshlrev_b32_e32 v0, 8, v82
	v_add3_u32 v42, 0, v0, v87
	;; [unrolled: 2-line block ×5, first 2 shown]
	v_lshlrev_b32_e32 v0, 2, v12
	v_pk_fma_f32 v[74:75], v[74:75], 2.0, v[2:3] op_sel_hi:[1,0,1] neg_lo:[0,0,1] neg_hi:[0,0,1]
	v_pk_fma_f32 v[96:97], v[124:125], 2.0, v[76:77] op_sel_hi:[1,0,1] neg_lo:[0,0,1] neg_hi:[0,0,1]
	v_pk_add_f32 v[98:99], v[2:3], v[76:77] op_sel:[0,1] op_sel_hi:[1,0] neg_lo:[0,1] neg_hi:[0,1]
	v_pk_add_f32 v[76:77], v[2:3], v[76:77] op_sel:[0,1] op_sel_hi:[1,0]
	v_bitop3_b32 v0, v0, 9, v12 bitop3:0xc8
	v_mov_b32_e32 v99, v77
	v_lshlrev_b32_e32 v0, 8, v0
	v_pk_add_f32 v[76:77], v[74:75], v[96:97] neg_lo:[0,1] neg_hi:[0,1]
	v_add3_u32 v0, 0, v0, v87
	v_pk_fma_f32 v[74:75], v[74:75], 2.0, v[76:77] op_sel_hi:[1,0,1] neg_lo:[0,0,1] neg_hi:[0,0,1]
	v_pk_fma_f32 v[2:3], v[2:3], 2.0, v[98:99] op_sel_hi:[1,0,1] neg_lo:[0,0,1] neg_hi:[0,0,1]
	v_mov_b32_e32 v131, v1
	ds_read_b64 v[126:127], v58
	ds_read_b64 v[96:97], v36
	;; [unrolled: 1-line block ×5, first 2 shown]
	s_waitcnt lgkmcnt(0)
	s_barrier
	ds_write2st64_b64 v0, v[74:75], v[2:3] offset1:1
	ds_write2st64_b64 v0, v[76:77], v[98:99] offset0:2 offset1:3
	v_pk_add_f32 v[0:1], v[122:123], v[118:119] neg_lo:[0,1] neg_hi:[0,1]
	v_pk_add_f32 v[2:3], v[130:131], v[92:93] neg_lo:[0,1] neg_hi:[0,1]
	v_lshlrev_b32_e32 v75, 2, v19
	v_pk_fma_f32 v[76:77], v[130:131], 2.0, v[2:3] op_sel_hi:[1,0,1] neg_lo:[0,0,1] neg_hi:[0,0,1]
	v_pk_add_f32 v[90:91], v[0:1], v[2:3] op_sel:[0,1] op_sel_hi:[1,0] neg_lo:[0,1] neg_hi:[0,1]
	v_pk_add_f32 v[2:3], v[0:1], v[2:3] op_sel:[0,1] op_sel_hi:[1,0]
	v_lshlrev_b32_e32 v74, 2, v82
	v_bitop3_b32 v2, v75, s16, v12 bitop3:0xc8
	v_lshlrev_b32_e32 v2, 8, v2
	v_mov_b32_e32 v91, v3
	v_add3_u32 v5, 0, v2, v87
	v_pk_fma_f32 v[2:3], v[122:123], 2.0, v[0:1] op_sel_hi:[1,0,1] neg_lo:[0,0,1] neg_hi:[0,0,1]
	v_pk_fma_f32 v[0:1], v[0:1], 2.0, v[90:91] op_sel_hi:[1,0,1] neg_lo:[0,0,1] neg_hi:[0,0,1]
	v_pk_add_f32 v[76:77], v[2:3], v[76:77] neg_lo:[0,1] neg_hi:[0,1]
	v_mov_b32_e32 v11, v41
	v_pk_fma_f32 v[2:3], v[2:3], 2.0, v[76:77] op_sel_hi:[1,0,1] neg_lo:[0,0,1] neg_hi:[0,0,1]
	ds_write2st64_b64 v5, v[2:3], v[0:1] offset1:1
	ds_write2st64_b64 v5, v[76:77], v[90:91] offset0:2 offset1:3
	v_lshlrev_b32_e32 v77, 2, v80
	v_bitop3_b32 v0, v77, s16, v12 bitop3:0xc8
	v_lshlrev_b32_e32 v0, 8, v0
	v_lshlrev_b32_e32 v76, 2, v81
	v_mov_b32_e32 v5, v33
	v_add3_u32 v33, 0, v0, v87
	v_bitop3_b32 v0, v76, s16, v12 bitop3:0xc8
	v_lshlrev_b32_e32 v0, 8, v0
	v_add3_u32 v37, 0, v0, v87
	v_bitop3_b32 v0, v74, s16, v12 bitop3:0xc8
	v_lshlrev_b32_e32 v0, 8, v0
	;; [unrolled: 3-line block ×4, first 2 shown]
	v_add3_u32 v63, 0, v0, v87
	v_pk_add_f32 v[0:1], v[126:127], v[114:115] neg_lo:[0,1] neg_hi:[0,1]
	v_pk_add_f32 v[2:3], v[108:109], v[56:57] neg_lo:[0,1] neg_hi:[0,1]
	v_pk_add_f32 v[56:57], v[128:129], v[68:69] neg_lo:[0,1] neg_hi:[0,1]
	v_pk_add_f32 v[68:69], v[88:89], v[70:71] neg_lo:[0,1] neg_hi:[0,1]
	v_mov_b32_e32 v31, v49
	v_pk_fma_f32 v[40:41], v[108:109], 2.0, v[2:3] op_sel_hi:[1,0,1] neg_lo:[0,0,1] neg_hi:[0,0,1]
	v_pk_add_f32 v[48:49], v[0:1], v[2:3] op_sel:[0,1] op_sel_hi:[1,0] neg_lo:[0,1] neg_hi:[0,1]
	v_pk_add_f32 v[2:3], v[0:1], v[2:3] op_sel:[0,1] op_sel_hi:[1,0]
	v_pk_fma_f32 v[70:71], v[88:89], 2.0, v[68:69] op_sel_hi:[1,0,1] neg_lo:[0,0,1] neg_hi:[0,0,1]
	v_pk_fma_f32 v[88:89], v[126:127], 2.0, v[0:1] op_sel_hi:[1,0,1] neg_lo:[0,0,1] neg_hi:[0,0,1]
	v_mov_b32_e32 v65, v107
	v_mov_b32_e32 v49, v3
	v_pk_add_f32 v[40:41], v[88:89], v[40:41] neg_lo:[0,1] neg_hi:[0,1]
	v_pk_add_f32 v[46:47], v[64:65], v[46:47] neg_lo:[0,1] neg_hi:[0,1]
	v_pk_fma_f32 v[88:89], v[88:89], 2.0, v[40:41] op_sel_hi:[1,0,1] neg_lo:[0,0,1] neg_hi:[0,0,1]
	v_pk_fma_f32 v[0:1], v[0:1], 2.0, v[48:49] op_sel_hi:[1,0,1] neg_lo:[0,0,1] neg_hi:[0,0,1]
	;; [unrolled: 1-line block ×3, first 2 shown]
	ds_write2st64_b64 v33, v[88:89], v[0:1] offset1:1
	ds_write2st64_b64 v33, v[40:41], v[48:49] offset0:2 offset1:3
	v_pk_add_f32 v[0:1], v[68:69], v[46:47] op_sel:[0,1] op_sel_hi:[1,0] neg_lo:[0,1] neg_hi:[0,1]
	v_pk_add_f32 v[40:41], v[68:69], v[46:47] op_sel:[0,1] op_sel_hi:[1,0]
	v_mov_b32_e32 v61, v101
	v_mov_b32_e32 v45, v55
	v_pk_add_f32 v[64:65], v[70:71], v[64:65] neg_lo:[0,1] neg_hi:[0,1]
	v_mov_b32_e32 v1, v41
	v_mov_b32_e32 v67, v103
	v_pk_add_f32 v[44:45], v[60:61], v[44:45] neg_lo:[0,1] neg_hi:[0,1]
	v_pk_fma_f32 v[70:71], v[70:71], 2.0, v[64:65] op_sel_hi:[1,0,1] neg_lo:[0,0,1] neg_hi:[0,0,1]
	v_pk_fma_f32 v[40:41], v[68:69], 2.0, v[0:1] op_sel_hi:[1,0,1] neg_lo:[0,0,1] neg_hi:[0,0,1]
	v_mov_b32_e32 v35, v53
	v_pk_add_f32 v[52:53], v[124:125], v[66:67] neg_lo:[0,1] neg_hi:[0,1]
	v_pk_fma_f32 v[66:67], v[128:129], 2.0, v[56:57] op_sel_hi:[1,0,1] neg_lo:[0,0,1] neg_hi:[0,0,1]
	v_pk_fma_f32 v[60:61], v[60:61], 2.0, v[44:45] op_sel_hi:[1,0,1] neg_lo:[0,0,1] neg_hi:[0,0,1]
	ds_write2st64_b64 v37, v[70:71], v[40:41] offset1:1
	ds_write2st64_b64 v37, v[64:65], v[0:1] offset0:2 offset1:3
	v_pk_add_f32 v[0:1], v[56:57], v[44:45] op_sel:[0,1] op_sel_hi:[1,0] neg_lo:[0,1] neg_hi:[0,1]
	v_pk_add_f32 v[40:41], v[56:57], v[44:45] op_sel:[0,1] op_sel_hi:[1,0]
	v_mov_b32_e32 v29, v51
	v_pk_add_f32 v[60:61], v[66:67], v[60:61] neg_lo:[0,1] neg_hi:[0,1]
	v_mov_b32_e32 v1, v41
	v_pk_add_f32 v[34:35], v[28:29], v[34:35] neg_lo:[0,1] neg_hi:[0,1]
	v_pk_fma_f32 v[66:67], v[66:67], 2.0, v[60:61] op_sel_hi:[1,0,1] neg_lo:[0,0,1] neg_hi:[0,0,1]
	v_pk_fma_f32 v[40:41], v[56:57], 2.0, v[0:1] op_sel_hi:[1,0,1] neg_lo:[0,0,1] neg_hi:[0,0,1]
	;; [unrolled: 1-line block ×4, first 2 shown]
	ds_write2st64_b64 v39, v[66:67], v[40:41] offset1:1
	ds_write2st64_b64 v39, v[60:61], v[0:1] offset0:2 offset1:3
	v_pk_add_f32 v[0:1], v[52:53], v[34:35] op_sel:[0,1] op_sel_hi:[1,0] neg_lo:[0,1] neg_hi:[0,1]
	v_pk_add_f32 v[34:35], v[52:53], v[34:35] op_sel:[0,1] op_sel_hi:[1,0]
	v_pk_add_f32 v[28:29], v[54:55], v[28:29] neg_lo:[0,1] neg_hi:[0,1]
	v_mov_b32_e32 v1, v35
	v_lshlrev_b32_e32 v22, 2, v85
	v_pk_add_f32 v[26:27], v[120:121], v[26:27] neg_lo:[0,1] neg_hi:[0,1]
	v_pk_add_f32 v[30:31], v[10:11], v[30:31] neg_lo:[0,1] neg_hi:[0,1]
	v_pk_fma_f32 v[54:55], v[54:55], 2.0, v[28:29] op_sel_hi:[1,0,1] neg_lo:[0,0,1] neg_hi:[0,0,1]
	v_pk_fma_f32 v[34:35], v[52:53], 2.0, v[0:1] op_sel_hi:[1,0,1] neg_lo:[0,0,1] neg_hi:[0,0,1]
	v_bitop3_b32 v2, v22, s16, v12 bitop3:0xc8
	v_pk_fma_f32 v[50:51], v[120:121], 2.0, v[26:27] op_sel_hi:[1,0,1] neg_lo:[0,0,1] neg_hi:[0,0,1]
	v_pk_fma_f32 v[10:11], v[10:11], 2.0, v[30:31] op_sel_hi:[1,0,1] neg_lo:[0,0,1] neg_hi:[0,0,1]
	ds_write2st64_b64 v43, v[54:55], v[34:35] offset1:1
	ds_write2st64_b64 v43, v[28:29], v[0:1] offset0:2 offset1:3
	v_pk_add_f32 v[0:1], v[26:27], v[30:31] op_sel:[0,1] op_sel_hi:[1,0] neg_lo:[0,1] neg_hi:[0,1]
	v_pk_add_f32 v[28:29], v[26:27], v[30:31] op_sel:[0,1] op_sel_hi:[1,0]
	v_lshlrev_b32_e32 v2, 8, v2
	v_pk_add_f32 v[10:11], v[50:51], v[10:11] neg_lo:[0,1] neg_hi:[0,1]
	v_mov_b32_e32 v1, v29
	v_add3_u32 v59, 0, v2, v87
	v_pk_add_f32 v[2:3], v[96:97], v[6:7] neg_lo:[0,1] neg_hi:[0,1]
	v_pk_add_f32 v[8:9], v[4:5], v[8:9] neg_lo:[0,1] neg_hi:[0,1]
	v_pk_fma_f32 v[50:51], v[50:51], 2.0, v[10:11] op_sel_hi:[1,0,1] neg_lo:[0,0,1] neg_hi:[0,0,1]
	v_pk_fma_f32 v[26:27], v[26:27], 2.0, v[0:1] op_sel_hi:[1,0,1] neg_lo:[0,0,1] neg_hi:[0,0,1]
	;; [unrolled: 1-line block ×4, first 2 shown]
	ds_write2st64_b64 v63, v[50:51], v[26:27] offset1:1
	ds_write2st64_b64 v63, v[10:11], v[0:1] offset0:2 offset1:3
	v_pk_add_f32 v[0:1], v[2:3], v[8:9] op_sel:[0,1] op_sel_hi:[1,0] neg_lo:[0,1] neg_hi:[0,1]
	v_pk_add_f32 v[8:9], v[2:3], v[8:9] op_sel:[0,1] op_sel_hi:[1,0]
	v_pk_add_f32 v[4:5], v[6:7], v[4:5] neg_lo:[0,1] neg_hi:[0,1]
	v_mov_b32_e32 v1, v9
	v_pk_fma_f32 v[6:7], v[6:7], 2.0, v[4:5] op_sel_hi:[1,0,1] neg_lo:[0,0,1] neg_hi:[0,0,1]
	v_pk_fma_f32 v[2:3], v[2:3], 2.0, v[0:1] op_sel_hi:[1,0,1] neg_lo:[0,0,1] neg_hi:[0,0,1]
	v_and_b32_e32 v26, 7, v85
	ds_write2st64_b64 v59, v[6:7], v[2:3] offset1:1
	ds_write2st64_b64 v59, v[4:5], v[0:1] offset0:2 offset1:3
	v_mul_u32_u24_e32 v0, 3, v26
	v_lshlrev_b32_e32 v29, 3, v0
	s_waitcnt lgkmcnt(0)
	s_barrier
	global_load_dwordx4 v[8:11], v29, s[12:13] offset:48
	v_and_b32_e32 v27, 7, v83
	v_mul_u32_u24_e32 v0, 3, v27
	v_lshlrev_b32_e32 v33, 3, v0
	global_load_dwordx4 v[4:7], v33, s[12:13] offset:48
	v_and_b32_e32 v28, 7, v81
	v_mul_u32_u24_e32 v0, 3, v28
	v_lshlrev_b32_e32 v37, 3, v0
	global_load_dwordx4 v[0:3], v37, s[12:13] offset:48
	v_mul_u32_u24_e32 v30, 3, v12
	v_lshlrev_b32_e32 v86, 3, v30
	global_load_dwordx4 v[44:47], v86, s[12:13] offset:48
	v_and_b32_e32 v39, 7, v19
	v_mul_u32_u24_e32 v30, 3, v39
	v_lshlrev_b32_e32 v43, 3, v30
	global_load_dwordx4 v[48:51], v43, s[12:13] offset:48
	global_load_dwordx2 v[30:31], v33, s[12:13] offset:64
	global_load_dwordx2 v[34:35], v86, s[12:13] offset:64
	ds_read2st64_b64 v[52:55], v73 offset0:28 offset1:30
	ds_read2st64_b64 v[64:67], v73 offset0:44 offset1:46
	global_load_dwordx2 v[40:41], v29, s[12:13] offset:64
	global_load_dwordx2 v[60:61], v37, s[12:13] offset:64
	;; [unrolled: 1-line block ×3, first 2 shown]
	s_movk_i32 s16, 0xe0
	s_waitcnt vmcnt(9) lgkmcnt(1)
	v_pk_mul_f32 v[56:57], v[54:55], v[8:9] op_sel:[0,1]
	s_nop 0
	v_pk_fma_f32 v[70:71], v[54:55], v[8:9], v[56:57] op_sel:[0,0,1] op_sel_hi:[1,1,0] neg_lo:[0,0,1] neg_hi:[0,0,1]
	v_pk_fma_f32 v[88:89], v[54:55], v[8:9], v[56:57] op_sel:[0,0,1] op_sel_hi:[1,0,0]
	v_mov_b32_e32 v8, v11
	ds_read2st64_b64 v[54:57], v73 offset0:24 offset1:26
	s_waitcnt lgkmcnt(1)
	v_pk_mul_f32 v[8:9], v[66:67], v[8:9] op_sel_hi:[1,0]
	v_mov_b32_e32 v71, v89
	v_pk_fma_f32 v[90:91], v[66:67], v[10:11], v[8:9] op_sel:[0,0,1] op_sel_hi:[1,1,0] neg_lo:[0,0,1] neg_hi:[0,0,1]
	v_pk_fma_f32 v[92:93], v[66:67], v[10:11], v[8:9] op_sel:[0,0,1] op_sel_hi:[1,0,0]
	ds_read2st64_b64 v[8:11], v73 offset0:40 offset1:42
	s_waitcnt vmcnt(8) lgkmcnt(1)
	v_pk_mul_f32 v[66:67], v[56:57], v[4:5] op_sel:[0,1]
	v_mov_b32_e32 v91, v93
	v_pk_fma_f32 v[94:95], v[56:57], v[4:5], v[66:67] op_sel:[0,0,1] op_sel_hi:[1,1,0] neg_lo:[0,0,1] neg_hi:[0,0,1]
	v_pk_fma_f32 v[56:57], v[56:57], v[4:5], v[66:67] op_sel:[0,0,1] op_sel_hi:[1,0,0]
	v_mov_b32_e32 v4, v7
	ds_read2st64_b64 v[66:69], v73 offset0:20 offset1:22
	s_waitcnt lgkmcnt(1)
	v_pk_mul_f32 v[4:5], v[10:11], v[4:5] op_sel_hi:[1,0]
	v_mov_b32_e32 v95, v57
	v_pk_fma_f32 v[98:99], v[10:11], v[6:7], v[4:5] op_sel:[0,0,1] op_sel_hi:[1,1,0] neg_lo:[0,0,1] neg_hi:[0,0,1]
	v_pk_fma_f32 v[10:11], v[10:11], v[6:7], v[4:5] op_sel:[0,0,1] op_sel_hi:[1,0,0]
	ds_read2st64_b64 v[4:7], v73 offset0:36 offset1:38
	s_waitcnt vmcnt(7) lgkmcnt(1)
	v_pk_mul_f32 v[100:101], v[68:69], v[0:1] op_sel:[0,1]
	v_mov_b32_e32 v99, v11
	v_pk_fma_f32 v[102:103], v[68:69], v[0:1], v[100:101] op_sel:[0,0,1] op_sel_hi:[1,1,0] neg_lo:[0,0,1] neg_hi:[0,0,1]
	v_pk_fma_f32 v[68:69], v[68:69], v[0:1], v[100:101] op_sel:[0,0,1] op_sel_hi:[1,0,0]
	v_mov_b32_e32 v0, v3
	s_waitcnt lgkmcnt(0)
	v_pk_mul_f32 v[0:1], v[6:7], v[0:1] op_sel_hi:[1,0]
	v_mov_b32_e32 v103, v69
	v_pk_fma_f32 v[100:101], v[6:7], v[2:3], v[0:1] op_sel:[0,0,1] op_sel_hi:[1,1,0] neg_lo:[0,0,1] neg_hi:[0,0,1]
	v_pk_fma_f32 v[104:105], v[6:7], v[2:3], v[0:1] op_sel:[0,0,1] op_sel_hi:[1,0,0]
	s_waitcnt vmcnt(6)
	v_pk_mul_f32 v[0:1], v[52:53], v[44:45] op_sel:[0,1]
	v_mov_b32_e32 v101, v105
	v_pk_fma_f32 v[106:107], v[52:53], v[44:45], v[0:1] op_sel:[0,0,1] op_sel_hi:[1,1,0] neg_lo:[0,0,1] neg_hi:[0,0,1]
	v_pk_fma_f32 v[52:53], v[52:53], v[44:45], v[0:1] op_sel:[0,0,1] op_sel_hi:[1,0,0]
	v_mov_b32_e32 v0, v47
	v_pk_mul_f32 v[2:3], v[64:65], v[0:1] op_sel_hi:[1,0]
	v_mov_b32_e32 v107, v53
	v_pk_fma_f32 v[108:109], v[64:65], v[46:47], v[2:3] op_sel:[0,0,1] op_sel_hi:[1,1,0] neg_lo:[0,0,1] neg_hi:[0,0,1]
	v_pk_fma_f32 v[64:65], v[64:65], v[46:47], v[2:3] op_sel:[0,0,1] op_sel_hi:[1,0,0]
	v_pk_mul_f32 v[2:3], v[54:55], v[44:45] op_sel:[0,1]
	v_mov_b32_e32 v109, v65
	v_pk_fma_f32 v[110:111], v[54:55], v[44:45], v[2:3] op_sel:[0,0,1] op_sel_hi:[1,1,0] neg_lo:[0,0,1] neg_hi:[0,0,1]
	v_pk_fma_f32 v[54:55], v[54:55], v[44:45], v[2:3] op_sel:[0,0,1] op_sel_hi:[1,0,0]
	v_pk_mul_f32 v[2:3], v[8:9], v[0:1] op_sel_hi:[1,0]
	v_pk_mul_f32 v[0:1], v[4:5], v[0:1] op_sel_hi:[1,0]
	v_pk_fma_f32 v[112:113], v[8:9], v[46:47], v[2:3] op_sel:[0,0,1] op_sel_hi:[1,1,0] neg_lo:[0,0,1] neg_hi:[0,0,1]
	v_pk_fma_f32 v[8:9], v[8:9], v[46:47], v[2:3] op_sel:[0,0,1] op_sel_hi:[1,0,0]
	v_pk_mul_f32 v[2:3], v[66:67], v[44:45] op_sel:[0,1]
	v_pk_fma_f32 v[116:117], v[4:5], v[46:47], v[0:1] op_sel:[0,0,1] op_sel_hi:[1,1,0] neg_lo:[0,0,1] neg_hi:[0,0,1]
	v_pk_fma_f32 v[114:115], v[66:67], v[44:45], v[2:3] op_sel:[0,0,1] op_sel_hi:[1,1,0] neg_lo:[0,0,1] neg_hi:[0,0,1]
	v_pk_fma_f32 v[66:67], v[66:67], v[44:45], v[2:3] op_sel:[0,0,1] op_sel_hi:[1,0,0]
	v_pk_fma_f32 v[118:119], v[4:5], v[46:47], v[0:1] op_sel:[0,0,1] op_sel_hi:[1,0,0]
	ds_read_b64 v[4:5], v78
	ds_read2st64_b64 v[0:3], v73 offset0:32 offset1:34
	ds_read_b64 v[120:121], v79
	ds_read_b64 v[122:123], v58
	ds_read_b64 v[124:125], v73 offset:31744
	s_waitcnt lgkmcnt(4)
	v_pk_mul_f32 v[6:7], v[44:45], v[4:5] op_sel:[0,1]
	v_mov_b32_e32 v115, v67
	v_pk_fma_f32 v[126:127], v[44:45], v[4:5], v[6:7] op_sel:[0,0,1] op_sel_hi:[1,1,0] neg_lo:[0,0,1] neg_hi:[0,0,1]
	v_pk_fma_f32 v[44:45], v[44:45], v[4:5], v[6:7] op_sel:[0,0,1] op_sel_hi:[1,0,0]
	s_waitcnt lgkmcnt(3)
	v_pk_mul_f32 v[4:5], v[46:47], v[0:1] op_sel:[0,1]
	v_mov_b32_e32 v127, v45
	v_pk_fma_f32 v[128:129], v[46:47], v[0:1], v[4:5] op_sel:[0,0,1] op_sel_hi:[1,1,0] neg_lo:[0,0,1] neg_hi:[0,0,1]
	v_pk_fma_f32 v[46:47], v[46:47], v[0:1], v[4:5] op_sel:[0,0,1] op_sel_hi:[1,0,0]
	ds_read2st64_b64 v[4:7], v73 offset1:18
	s_waitcnt vmcnt(5)
	v_mov_b32_e32 v0, v51
	v_pk_mul_f32 v[0:1], v[2:3], v[0:1] op_sel_hi:[1,0]
	v_mov_b32_e32 v129, v47
	v_pk_fma_f32 v[130:131], v[2:3], v[50:51], v[0:1] op_sel:[0,0,1] op_sel_hi:[1,1,0] neg_lo:[0,0,1] neg_hi:[0,0,1]
	v_pk_fma_f32 v[50:51], v[2:3], v[50:51], v[0:1] op_sel:[0,0,1] op_sel_hi:[1,0,0]
	s_waitcnt lgkmcnt(0)
	v_pk_mul_f32 v[0:1], v[6:7], v[48:49] op_sel:[0,1]
	v_mov_b32_e32 v131, v51
	v_pk_fma_f32 v[132:133], v[6:7], v[48:49], v[0:1] op_sel:[0,0,1] op_sel_hi:[1,1,0] neg_lo:[0,0,1] neg_hi:[0,0,1]
	v_pk_fma_f32 v[6:7], v[6:7], v[48:49], v[0:1] op_sel:[0,0,1] op_sel_hi:[1,0,0]
	ds_read2st64_b64 v[0:3], v73 offset0:58 offset1:60
	v_mov_b32_e32 v133, v7
	v_mov_b32_e32 v117, v119
	;; [unrolled: 1-line block ×4, first 2 shown]
	s_waitcnt vmcnt(4) lgkmcnt(0)
	v_pk_mul_f32 v[48:49], v[0:1], v[30:31] op_sel:[0,1]
	s_nop 0
	v_pk_fma_f32 v[134:135], v[0:1], v[30:31], v[48:49] op_sel:[0,0,1] op_sel_hi:[1,1,0] neg_lo:[0,0,1] neg_hi:[0,0,1]
	v_pk_fma_f32 v[30:31], v[0:1], v[30:31], v[48:49] op_sel:[0,0,1] op_sel_hi:[1,0,0]
	s_waitcnt vmcnt(3)
	v_pk_mul_f32 v[0:1], v[2:3], v[34:35] op_sel:[0,1]
	v_mov_b32_e32 v135, v31
	v_pk_fma_f32 v[48:49], v[2:3], v[34:35], v[0:1] op_sel:[0,0,1] op_sel_hi:[1,1,0] neg_lo:[0,0,1] neg_hi:[0,0,1]
	v_pk_fma_f32 v[136:137], v[2:3], v[34:35], v[0:1] op_sel:[0,0,1] op_sel_hi:[1,0,0]
	ds_read2st64_b64 v[0:3], v73 offset0:54 offset1:56
	v_mov_b32_e32 v49, v137
	v_pk_add_f32 v[48:49], v[106:107], v[48:49] neg_lo:[0,1] neg_hi:[0,1]
	s_waitcnt vmcnt(1) lgkmcnt(0)
	v_pk_mul_f32 v[138:139], v[0:1], v[60:61] op_sel:[0,1]
	s_nop 0
	v_pk_fma_f32 v[140:141], v[0:1], v[60:61], v[138:139] op_sel:[0,0,1] op_sel_hi:[1,1,0] neg_lo:[0,0,1] neg_hi:[0,0,1]
	v_pk_fma_f32 v[60:61], v[0:1], v[60:61], v[138:139] op_sel:[0,0,1] op_sel_hi:[1,0,0]
	v_pk_mul_f32 v[0:1], v[2:3], v[34:35] op_sel:[0,1]
	v_mov_b32_e32 v141, v61
	v_pk_fma_f32 v[138:139], v[2:3], v[34:35], v[0:1] op_sel:[0,0,1] op_sel_hi:[1,1,0] neg_lo:[0,0,1] neg_hi:[0,0,1]
	v_pk_fma_f32 v[142:143], v[2:3], v[34:35], v[0:1] op_sel:[0,0,1] op_sel_hi:[1,0,0]
	ds_read2st64_b64 v[0:3], v73 offset0:50 offset1:52
	v_pk_add_f32 v[50:51], v[102:103], v[140:141] neg_lo:[0,1] neg_hi:[0,1]
	v_mov_b32_e32 v139, v143
	v_pk_fma_f32 v[52:53], v[102:103], 2.0, v[50:51] op_sel_hi:[1,0,1] neg_lo:[0,0,1] neg_hi:[0,0,1]
	v_pk_add_f32 v[68:69], v[110:111], v[138:139] neg_lo:[0,1] neg_hi:[0,1]
	s_waitcnt vmcnt(0) lgkmcnt(0)
	v_pk_mul_f32 v[144:145], v[0:1], v[96:97] op_sel:[0,1]
	v_pk_fma_f32 v[60:61], v[106:107], 2.0, v[48:49] op_sel_hi:[1,0,1] neg_lo:[0,0,1] neg_hi:[0,0,1]
	v_pk_fma_f32 v[146:147], v[0:1], v[96:97], v[144:145] op_sel:[0,0,1] op_sel_hi:[1,1,0] neg_lo:[0,0,1] neg_hi:[0,0,1]
	v_pk_fma_f32 v[0:1], v[0:1], v[96:97], v[144:145] op_sel:[0,0,1] op_sel_hi:[1,0,0]
	v_pk_mul_f32 v[96:97], v[2:3], v[34:35] op_sel:[0,1]
	v_add_u32_e32 v0, 0x6000, v73
	v_pk_fma_f32 v[144:145], v[2:3], v[34:35], v[96:97] op_sel:[0,0,1] op_sel_hi:[1,1,0] neg_lo:[0,0,1] neg_hi:[0,0,1]
	v_pk_fma_f32 v[2:3], v[2:3], v[34:35], v[96:97] op_sel:[0,0,1] op_sel_hi:[1,0,0]
	ds_read2_b32 v[96:97], v0 offset1:1
	v_mov_b32_e32 v147, v1
	v_and_or_b32 v2, v75, s16, v39
	v_lshlrev_b32_e32 v2, 8, v2
	v_add3_u32 v2, 0, v2, v87
	s_waitcnt lgkmcnt(0)
	v_mov_b32_e32 v0, v97
	v_pk_mul_f32 v[148:149], v[0:1], v[34:35] op_sel_hi:[0,1]
	v_pk_fma_f32 v[150:151], v[34:35], v[96:97], v[148:149] op_sel:[0,0,1] op_sel_hi:[1,1,0] neg_lo:[0,0,1] neg_hi:[0,0,1]
	v_pk_fma_f32 v[34:35], v[34:35], v[96:97], v[148:149] op_sel:[0,0,1] op_sel_hi:[1,0,0]
	v_pk_add_f32 v[0:1], v[120:121], v[130:131] neg_lo:[0,1] neg_hi:[0,1]
	v_mov_b32_e32 v151, v35
	v_pk_add_f32 v[34:35], v[4:5], v[128:129] neg_lo:[0,1] neg_hi:[0,1]
	v_pk_add_f32 v[44:45], v[126:127], v[150:151] neg_lo:[0,1] neg_hi:[0,1]
	v_pk_fma_f32 v[4:5], v[4:5], 2.0, v[34:35] op_sel_hi:[1,0,1] neg_lo:[0,0,1] neg_hi:[0,0,1]
	v_pk_fma_f32 v[46:47], v[126:127], 2.0, v[44:45] op_sel_hi:[1,0,1] neg_lo:[0,0,1] neg_hi:[0,0,1]
	v_pk_add_f32 v[96:97], v[34:35], v[44:45] op_sel:[0,1] op_sel_hi:[1,0] neg_lo:[0,1] neg_hi:[0,1]
	v_pk_add_f32 v[44:45], v[34:35], v[44:45] op_sel:[0,1] op_sel_hi:[1,0]
	v_mov_b32_e32 v145, v3
	v_mov_b32_e32 v97, v45
	v_pk_add_f32 v[44:45], v[4:5], v[46:47] neg_lo:[0,1] neg_hi:[0,1]
	v_pk_fma_f32 v[34:35], v[34:35], 2.0, v[96:97] op_sel_hi:[1,0,1] neg_lo:[0,0,1] neg_hi:[0,0,1]
	v_pk_fma_f32 v[4:5], v[4:5], 2.0, v[44:45] op_sel_hi:[1,0,1] neg_lo:[0,0,1] neg_hi:[0,0,1]
	ds_read_b64 v[46:47], v36
	ds_read_b64 v[126:127], v32
	;; [unrolled: 1-line block ×5, first 2 shown]
	s_waitcnt lgkmcnt(0)
	s_barrier
	ds_write2st64_b64 v73, v[4:5], v[34:35] offset1:4
	ds_write2st64_b64 v73, v[44:45], v[96:97] offset0:8 offset1:12
	v_pk_add_f32 v[4:5], v[132:133], v[146:147] neg_lo:[0,1] neg_hi:[0,1]
	v_pk_add_f32 v[44:45], v[150:151], v[100:101] neg_lo:[0,1] neg_hi:[0,1]
	v_pk_fma_f32 v[6:7], v[132:133], 2.0, v[4:5] op_sel_hi:[1,0,1] neg_lo:[0,0,1] neg_hi:[0,0,1]
	v_pk_add_f32 v[34:35], v[0:1], v[4:5] op_sel:[0,1] op_sel_hi:[1,0] neg_lo:[0,1] neg_hi:[0,1]
	v_pk_add_f32 v[4:5], v[0:1], v[4:5] op_sel:[0,1] op_sel_hi:[1,0]
	v_pk_add_f32 v[64:65], v[148:149], v[112:113] neg_lo:[0,1] neg_hi:[0,1]
	v_mov_b32_e32 v35, v5
	v_pk_fma_f32 v[4:5], v[120:121], 2.0, v[0:1] op_sel_hi:[1,0,1] neg_lo:[0,0,1] neg_hi:[0,0,1]
	v_pk_fma_f32 v[0:1], v[0:1], 2.0, v[34:35] op_sel_hi:[1,0,1] neg_lo:[0,0,1] neg_hi:[0,0,1]
	v_pk_add_f32 v[6:7], v[4:5], v[6:7] neg_lo:[0,1] neg_hi:[0,1]
	v_pk_fma_f32 v[66:67], v[148:149], 2.0, v[64:65] op_sel_hi:[1,0,1] neg_lo:[0,0,1] neg_hi:[0,0,1]
	v_pk_fma_f32 v[4:5], v[4:5], 2.0, v[6:7] op_sel_hi:[1,0,1] neg_lo:[0,0,1] neg_hi:[0,0,1]
	ds_write2st64_b64 v2, v[4:5], v[0:1] offset1:4
	ds_write2st64_b64 v2, v[6:7], v[34:35] offset0:8 offset1:12
	v_pk_mul_f32 v[0:1], v[124:125], v[40:41] op_sel:[0,1]
	v_pk_add_f32 v[2:3], v[114:115], v[144:145] neg_lo:[0,1] neg_hi:[0,1]
	v_pk_fma_f32 v[4:5], v[124:125], v[40:41], v[0:1] op_sel:[0,0,1] op_sel_hi:[1,1,0] neg_lo:[0,0,1] neg_hi:[0,0,1]
	v_pk_fma_f32 v[0:1], v[124:125], v[40:41], v[0:1] op_sel:[0,0,1] op_sel_hi:[1,0,0]
	v_pk_fma_f32 v[6:7], v[114:115], 2.0, v[2:3] op_sel_hi:[1,0,1] neg_lo:[0,0,1] neg_hi:[0,0,1]
	v_mov_b32_e32 v5, v1
	v_pk_add_f32 v[0:1], v[122:123], v[116:117] neg_lo:[0,1] neg_hi:[0,1]
	v_pk_add_f32 v[4:5], v[70:71], v[4:5] neg_lo:[0,1] neg_hi:[0,1]
	v_pk_add_f32 v[8:9], v[0:1], v[2:3] op_sel:[0,1] op_sel_hi:[1,0] neg_lo:[0,1] neg_hi:[0,1]
	v_pk_add_f32 v[2:3], v[0:1], v[2:3] op_sel:[0,1] op_sel_hi:[1,0]
	v_pk_fma_f32 v[88:89], v[122:123], 2.0, v[0:1] op_sel_hi:[1,0,1] neg_lo:[0,0,1] neg_hi:[0,0,1]
	v_and_or_b32 v2, v77, s16, v12
	v_lshlrev_b32_e32 v2, 8, v2
	v_add3_u32 v33, 0, v2, v87
	v_and_or_b32 v2, v76, s16, v28
	v_lshlrev_b32_e32 v2, 8, v2
	v_add3_u32 v37, 0, v2, v87
	;; [unrolled: 3-line block ×5, first 2 shown]
	v_and_or_b32 v2, v22, s16, v26
	v_mov_b32_e32 v9, v3
	v_lshlrev_b32_e32 v2, 8, v2
	v_pk_add_f32 v[6:7], v[88:89], v[6:7] neg_lo:[0,1] neg_hi:[0,1]
	v_add3_u32 v63, 0, v2, v87
	v_pk_add_f32 v[2:3], v[46:47], v[90:91] neg_lo:[0,1] neg_hi:[0,1]
	v_pk_fma_f32 v[88:89], v[88:89], 2.0, v[6:7] op_sel_hi:[1,0,1] neg_lo:[0,0,1] neg_hi:[0,0,1]
	v_pk_fma_f32 v[0:1], v[0:1], 2.0, v[8:9] op_sel_hi:[1,0,1] neg_lo:[0,0,1] neg_hi:[0,0,1]
	;; [unrolled: 1-line block ×4, first 2 shown]
	ds_write2st64_b64 v33, v[88:89], v[0:1] offset1:4
	ds_write2st64_b64 v33, v[6:7], v[8:9] offset0:8 offset1:12
	v_pk_add_f32 v[0:1], v[44:45], v[50:51] op_sel:[0,1] op_sel_hi:[1,0] neg_lo:[0,1] neg_hi:[0,1]
	v_pk_add_f32 v[6:7], v[44:45], v[50:51] op_sel:[0,1] op_sel_hi:[1,0]
	v_pk_add_f32 v[52:53], v[46:47], v[52:53] neg_lo:[0,1] neg_hi:[0,1]
	v_mov_b32_e32 v1, v7
	v_pk_fma_f32 v[46:47], v[46:47], 2.0, v[52:53] op_sel_hi:[1,0,1] neg_lo:[0,0,1] neg_hi:[0,0,1]
	v_pk_fma_f32 v[6:7], v[44:45], 2.0, v[0:1] op_sel_hi:[1,0,1] neg_lo:[0,0,1] neg_hi:[0,0,1]
	;; [unrolled: 1-line block ×4, first 2 shown]
	ds_write2st64_b64 v37, v[46:47], v[6:7] offset1:4
	ds_write2st64_b64 v37, v[52:53], v[0:1] offset0:8 offset1:12
	v_pk_add_f32 v[0:1], v[64:65], v[68:69] op_sel:[0,1] op_sel_hi:[1,0] neg_lo:[0,1] neg_hi:[0,1]
	v_pk_add_f32 v[6:7], v[64:65], v[68:69] op_sel:[0,1] op_sel_hi:[1,0]
	v_pk_add_f32 v[70:71], v[66:67], v[70:71] neg_lo:[0,1] neg_hi:[0,1]
	v_mov_b32_e32 v1, v7
	v_pk_add_f32 v[28:29], v[128:129], v[98:99] neg_lo:[0,1] neg_hi:[0,1]
	v_pk_add_f32 v[34:35], v[94:95], v[134:135] neg_lo:[0,1] neg_hi:[0,1]
	v_pk_fma_f32 v[66:67], v[66:67], 2.0, v[70:71] op_sel_hi:[1,0,1] neg_lo:[0,0,1] neg_hi:[0,0,1]
	v_pk_fma_f32 v[6:7], v[64:65], 2.0, v[0:1] op_sel_hi:[1,0,1] neg_lo:[0,0,1] neg_hi:[0,0,1]
	;; [unrolled: 1-line block ×4, first 2 shown]
	ds_write2st64_b64 v39, v[66:67], v[6:7] offset1:4
	ds_write2st64_b64 v39, v[70:71], v[0:1] offset0:8 offset1:12
	v_pk_add_f32 v[0:1], v[28:29], v[34:35] op_sel:[0,1] op_sel_hi:[1,0] neg_lo:[0,1] neg_hi:[0,1]
	v_pk_add_f32 v[6:7], v[28:29], v[34:35] op_sel:[0,1] op_sel_hi:[1,0]
	v_pk_add_f32 v[40:41], v[30:31], v[40:41] neg_lo:[0,1] neg_hi:[0,1]
	v_mov_b32_e32 v1, v7
	v_pk_fma_f32 v[30:31], v[30:31], 2.0, v[40:41] op_sel_hi:[1,0,1] neg_lo:[0,0,1] neg_hi:[0,0,1]
	v_pk_add_f32 v[54:55], v[126:127], v[108:109] neg_lo:[0,1] neg_hi:[0,1]
	v_pk_fma_f32 v[6:7], v[28:29], 2.0, v[0:1] op_sel_hi:[1,0,1] neg_lo:[0,0,1] neg_hi:[0,0,1]
	v_pk_fma_f32 v[56:57], v[126:127], 2.0, v[54:55] op_sel_hi:[1,0,1] neg_lo:[0,0,1] neg_hi:[0,0,1]
	ds_write2st64_b64 v43, v[30:31], v[6:7] offset1:4
	ds_write2st64_b64 v43, v[40:41], v[0:1] offset0:8 offset1:12
	v_pk_add_f32 v[0:1], v[54:55], v[48:49] op_sel:[0,1] op_sel_hi:[1,0] neg_lo:[0,1] neg_hi:[0,1]
	v_pk_add_f32 v[6:7], v[54:55], v[48:49] op_sel:[0,1] op_sel_hi:[1,0]
	v_pk_add_f32 v[60:61], v[56:57], v[60:61] neg_lo:[0,1] neg_hi:[0,1]
	v_mov_b32_e32 v1, v7
	v_pk_fma_f32 v[56:57], v[56:57], 2.0, v[60:61] op_sel_hi:[1,0,1] neg_lo:[0,0,1] neg_hi:[0,0,1]
	v_pk_fma_f32 v[6:7], v[54:55], 2.0, v[0:1] op_sel_hi:[1,0,1] neg_lo:[0,0,1] neg_hi:[0,0,1]
	ds_write2st64_b64 v59, v[56:57], v[6:7] offset1:4
	ds_write2st64_b64 v59, v[60:61], v[0:1] offset0:8 offset1:12
	v_pk_add_f32 v[0:1], v[2:3], v[4:5] op_sel:[0,1] op_sel_hi:[1,0] neg_lo:[0,1] neg_hi:[0,1]
	v_pk_add_f32 v[4:5], v[2:3], v[4:5] op_sel:[0,1] op_sel_hi:[1,0]
	v_pk_add_f32 v[26:27], v[10:11], v[26:27] neg_lo:[0,1] neg_hi:[0,1]
	v_mov_b32_e32 v1, v5
	v_pk_fma_f32 v[10:11], v[10:11], 2.0, v[26:27] op_sel_hi:[1,0,1] neg_lo:[0,0,1] neg_hi:[0,0,1]
	v_pk_fma_f32 v[2:3], v[2:3], 2.0, v[0:1] op_sel_hi:[1,0,1] neg_lo:[0,0,1] neg_hi:[0,0,1]
	ds_write2st64_b64 v63, v[10:11], v[2:3] offset1:4
	ds_write2st64_b64 v63, v[26:27], v[0:1] offset0:8 offset1:12
	s_waitcnt lgkmcnt(0)
	s_barrier
	s_and_saveexec_b64 s[14:15], s[2:3]
	s_cbranch_execz .LBB0_12
; %bb.11:
	v_and_b32_e32 v15, 31, v85
	v_mul_u32_u24_e32 v0, 3, v15
	s_load_dwordx2 s[0:1], s[0:1], 0x8
	v_lshlrev_b32_e32 v0, 3, v0
	global_load_dwordx4 v[26:29], v0, s[12:13] offset:240
	global_load_dwordx2 v[30:31], v0, s[12:13] offset:256
	v_or_b32_e32 v0, 0x60, v85
	v_mov_b32_e32 v87, 3
	v_mul_lo_u32 v0, v14, v0
	v_lshlrev_b32_sdwa v1, v87, v0 dst_sel:DWORD dst_unused:UNUSED_PAD src0_sel:DWORD src1_sel:BYTE_0
	v_lshlrev_b32_sdwa v2, v87, v0 dst_sel:DWORD dst_unused:UNUSED_PAD src0_sel:DWORD src1_sel:BYTE_1
	s_waitcnt lgkmcnt(0)
	global_load_dwordx2 v[34:35], v1, s[0:1]
	global_load_dwordx2 v[40:41], v2, s[0:1] offset:2048
	v_or_b32_e32 v1, 64, v15
	v_mul_lo_u32 v1, v14, v1
	v_mov_b32_e32 v88, 0x1000
	v_bfe_u32 v2, v1, 16, 8
	v_bfe_u32 v0, v0, 16, 8
	v_lshl_or_b32 v2, v2, 3, v88
	v_lshl_or_b32 v0, v0, 3, v88
	global_load_dwordx2 v[44:45], v2, s[0:1]
	global_load_dwordx2 v[50:51], v0, s[0:1]
	v_lshlrev_b32_sdwa v0, v87, v1 dst_sel:DWORD dst_unused:UNUSED_PAD src0_sel:DWORD src1_sel:BYTE_0
	v_lshlrev_b32_sdwa v1, v87, v1 dst_sel:DWORD dst_unused:UNUSED_PAD src0_sel:DWORD src1_sel:BYTE_1
	global_load_dwordx2 v[52:53], v0, s[0:1]
	global_load_dwordx2 v[54:55], v1, s[0:1] offset:2048
	v_or_b32_e32 v0, 32, v85
	v_mul_lo_u32 v4, v14, v0
	v_lshlrev_b32_sdwa v1, v87, v4 dst_sel:DWORD dst_unused:UNUSED_PAD src0_sel:DWORD src1_sel:BYTE_1
	v_lshlrev_b32_sdwa v0, v87, v4 dst_sel:DWORD dst_unused:UNUSED_PAD src0_sel:DWORD src1_sel:BYTE_0
	global_load_dwordx2 v[56:57], v1, s[0:1] offset:2048
	global_load_dwordx2 v[60:61], v0, s[0:1]
	v_bfe_u32 v4, v4, 16, 8
	v_lshl_or_b32 v4, v4, 3, v88
	global_load_dwordx2 v[64:65], v4, s[0:1]
	ds_read2st64_b64 v[0:3], v73 offset0:44 offset1:46
	ds_read2st64_b64 v[8:11], v73 offset0:28 offset1:30
	;; [unrolled: 1-line block ×3, first 2 shown]
	ds_read_b64 v[66:67], v36
	ds_read_b64 v[36:37], v32
	v_or_b32_e32 v32, 0x60, v84
	v_mul_lo_u32 v33, v14, v15
	v_mul_lo_u32 v43, v14, v32
	v_bfe_u32 v32, v33, 16, 8
	v_lshl_or_b32 v48, v32, 3, v88
	v_lshlrev_b32_sdwa v46, v87, v33 dst_sel:DWORD dst_unused:UNUSED_PAD src0_sel:DWORD src1_sel:BYTE_0
	v_lshlrev_b32_sdwa v47, v87, v33 dst_sel:DWORD dst_unused:UNUSED_PAD src0_sel:DWORD src1_sel:BYTE_1
	global_load_dwordx2 v[32:33], v48, s[0:1]
	global_load_dwordx2 v[68:69], v46, s[0:1]
	global_load_dwordx2 v[70:71], v47, s[0:1] offset:2048
	v_and_b32_e32 v85, 31, v84
	v_mul_u32_u24_e32 v39, 3, v85
	v_lshlrev_b32_e32 v39, 3, v39
	v_bfe_u32 v59, v43, 16, 8
	global_load_dwordx2 v[90:91], v39, s[12:13] offset:256
	global_load_dwordx4 v[46:49], v39, s[12:13] offset:240
	v_lshl_or_b32 v39, v59, 3, v88
	v_lshlrev_b32_sdwa v63, v87, v43 dst_sel:DWORD dst_unused:UNUSED_PAD src0_sel:DWORD src1_sel:BYTE_0
	v_mul_lo_u32 v17, s8, v17
	s_waitcnt vmcnt(15) lgkmcnt(4)
	v_mul_f32_e32 v59, v2, v29
	s_waitcnt lgkmcnt(3)
	v_mul_f32_e32 v89, v11, v27
	s_waitcnt vmcnt(14) lgkmcnt(2)
	v_mul_f32_e32 v92, v7, v31
	v_mul_f32_e32 v29, v3, v29
	v_fmac_f32_e32 v59, v3, v28
	v_fma_f32 v89, v10, v26, -v89
	v_fma_f32 v3, v6, v30, -v92
	v_mul_f32_e32 v27, v10, v27
	v_mul_f32_e32 v31, v6, v31
	v_fma_f32 v2, v2, v28, -v29
	v_sub_f32_e32 v28, v89, v3
	s_waitcnt vmcnt(12)
	v_mul_f32_e32 v3, v35, v41
	v_fmac_f32_e32 v27, v11, v26
	v_fmac_f32_e32 v31, v7, v30
	v_mul_f32_e32 v6, v34, v41
	v_fma_f32 v3, v34, v40, -v3
	s_waitcnt lgkmcnt(1)
	v_sub_f32_e32 v30, v67, v59
	v_sub_f32_e32 v41, v66, v2
	;; [unrolled: 1-line block ×3, first 2 shown]
	v_fmac_f32_e32 v6, v35, v40
	s_waitcnt vmcnt(10)
	v_mul_f32_e32 v10, v3, v51
	v_add_f32_e32 v31, v30, v28
	v_sub_f32_e32 v34, v41, v2
	v_fma_f32 v35, v67, 2.0, -v30
	v_fma_f32 v2, v27, 2.0, -v2
	v_mul_f32_e32 v7, v6, v51
	v_fmac_f32_e32 v10, v50, v6
	v_sub_f32_e32 v59, v35, v2
	v_fma_f32 v2, v50, v3, -v7
	v_mul_f32_e32 v27, v34, v10
	v_mul_f32_e32 v3, v31, v10
	v_fmac_f32_e32 v27, v31, v2
	v_fma_f32 v26, v34, v2, -v3
	v_lshlrev_b32_sdwa v29, v87, v43 dst_sel:DWORD dst_unused:UNUSED_PAD src0_sel:DWORD src1_sel:BYTE_1
	global_load_dwordx2 v[2:3], v39, s[0:1]
	global_load_dwordx2 v[6:7], v63, s[0:1]
	global_load_dwordx2 v[10:11], v29, s[0:1] offset:2048
	s_waitcnt vmcnt(11)
	v_mul_f32_e32 v29, v53, v55
	v_fma_f32 v29, v52, v54, -v29
	v_mul_f32_e32 v39, v52, v55
	v_fma_f32 v43, v66, 2.0, -v41
	v_fma_f32 v28, v89, 2.0, -v28
	v_fmac_f32_e32 v39, v53, v54
	v_sub_f32_e32 v63, v43, v28
	v_mul_f32_e32 v28, v29, v45
	v_mul_f32_e32 v40, v39, v45
	v_fmac_f32_e32 v28, v44, v39
	s_waitcnt vmcnt(9)
	v_mul_f32_e32 v39, v60, v57
	v_fma_f32 v40, v44, v29, -v40
	v_mul_f32_e32 v29, v63, v28
	v_mul_f32_e32 v28, v59, v28
	v_fma_f32 v30, v30, 2.0, -v31
	v_mul_f32_e32 v31, v61, v57
	v_fmac_f32_e32 v39, v61, v56
	v_fmac_f32_e32 v29, v59, v40
	v_fma_f32 v28, v63, v40, -v28
	v_fma_f32 v31, v60, v56, -v31
	s_waitcnt vmcnt(8)
	v_mul_f32_e32 v40, v39, v65
	v_fma_f32 v44, v64, v31, -v40
	v_or_b32_e32 v40, 64, v85
	v_mul_lo_u32 v45, v14, v40
	v_lshlrev_b32_sdwa v52, v87, v45 dst_sel:DWORD dst_unused:UNUSED_PAD src0_sel:DWORD src1_sel:BYTE_0
	v_fma_f32 v34, v41, 2.0, -v34
	v_lshlrev_b32_sdwa v53, v87, v45 dst_sel:DWORD dst_unused:UNUSED_PAD src0_sel:DWORD src1_sel:BYTE_1
	global_load_dwordx2 v[40:41], v52, s[0:1]
	global_load_dwordx2 v[50:51], v53, s[0:1] offset:2048
	v_mul_f32_e32 v52, v31, v65
	v_fmac_f32_e32 v52, v64, v39
	v_mul_f32_e32 v31, v34, v52
	v_fmac_f32_e32 v31, v30, v44
	v_mul_f32_e32 v30, v30, v52
	v_fma_f32 v30, v34, v44, -v30
	v_bfe_u32 v44, v45, 16, 8
	v_lshl_or_b32 v44, v44, 3, v88
	global_load_dwordx2 v[52:53], v44, s[0:1]
	v_or_b32_e32 v45, 32, v84
	v_mul_lo_u32 v45, v14, v45
	s_waitcnt vmcnt(8)
	v_mul_f32_e32 v39, v68, v71
	v_bfe_u32 v54, v45, 16, 8
	v_fma_f32 v34, v35, 2.0, -v59
	v_mul_f32_e32 v35, v69, v71
	v_fmac_f32_e32 v39, v69, v70
	v_lshl_or_b32 v59, v54, 3, v88
	v_lshlrev_b32_sdwa v60, v87, v45 dst_sel:DWORD dst_unused:UNUSED_PAD src0_sel:DWORD src1_sel:BYTE_0
	v_lshlrev_b32_sdwa v45, v87, v45 dst_sel:DWORD dst_unused:UNUSED_PAD src0_sel:DWORD src1_sel:BYTE_1
	v_fma_f32 v35, v68, v70, -v35
	v_mul_f32_e32 v44, v39, v33
	global_load_dwordx2 v[54:55], v59, s[0:1]
	global_load_dwordx2 v[56:57], v60, s[0:1]
	v_fma_f32 v44, v32, v35, -v44
	global_load_dwordx2 v[60:61], v45, s[0:1] offset:2048
	v_mul_f32_e32 v35, v35, v33
	v_fma_f32 v43, v43, 2.0, -v63
	v_fmac_f32_e32 v35, v32, v39
	v_mul_f32_e32 v33, v43, v35
	v_fmac_f32_e32 v33, v34, v44
	v_mul_f32_e32 v32, v34, v35
	v_mul_lo_u32 v34, v14, v85
	v_bfe_u32 v35, v34, 16, 8
	v_lshl_or_b32 v35, v35, 3, v88
	v_lshlrev_b32_sdwa v39, v87, v34 dst_sel:DWORD dst_unused:UNUSED_PAD src0_sel:DWORD src1_sel:BYTE_0
	v_lshlrev_b32_sdwa v34, v87, v34 dst_sel:DWORD dst_unused:UNUSED_PAD src0_sel:DWORD src1_sel:BYTE_1
	global_load_dwordx2 v[64:65], v35, s[0:1]
	global_load_dwordx2 v[66:67], v39, s[0:1]
	global_load_dwordx2 v[68:69], v34, s[0:1] offset:2048
	s_waitcnt vmcnt(12)
	v_mul_f32_e32 v34, v0, v49
	v_fmac_f32_e32 v34, v1, v48
	v_fma_f32 v32, v43, v44, -v32
	ds_read_b64 v[44:45], v38
	s_waitcnt lgkmcnt(1)
	v_sub_f32_e32 v38, v37, v34
	v_mul_f32_e32 v34, v9, v47
	v_fma_f32 v39, v8, v46, -v34
	v_mul_f32_e32 v34, v5, v91
	v_fma_f32 v34, v4, v90, -v34
	v_sub_f32_e32 v43, v39, v34
	v_and_b32_e32 v84, 31, v83
	v_mul_f32_e32 v1, v1, v49
	v_fma_f32 v0, v0, v48, -v1
	v_mul_f32_e32 v1, v8, v47
	v_fmac_f32_e32 v1, v9, v46
	s_waitcnt vmcnt(9)
	v_mul_f32_e32 v34, v7, v11
	v_fma_f32 v34, v6, v10, -v34
	v_mul_f32_e32 v6, v6, v11
	v_fmac_f32_e32 v6, v7, v10
	v_mul_f32_e32 v7, v6, v3
	v_mul_f32_e32 v3, v34, v3
	v_fma_f32 v7, v2, v34, -v7
	v_fmac_f32_e32 v3, v2, v6
	v_mul_u32_u24_e32 v2, 3, v84
	v_lshlrev_b32_e32 v2, 3, v2
	global_load_dwordx2 v[70:71], v2, s[12:13] offset:256
	global_load_dwordx4 v[46:49], v2, s[12:13] offset:240
	v_mul_f32_e32 v4, v4, v91
	v_fmac_f32_e32 v4, v5, v90
	v_sub_f32_e32 v0, v36, v0
	v_sub_f32_e32 v4, v1, v4
	v_add_f32_e32 v59, v38, v43
	v_sub_f32_e32 v5, v0, v4
	v_or_b32_e32 v6, 0x60, v83
	v_mul_f32_e32 v35, v5, v3
	v_mul_f32_e32 v2, v59, v3
	v_mul_lo_u32 v6, v14, v6
	v_fmac_f32_e32 v35, v59, v7
	v_fma_f32 v34, v5, v7, -v2
	v_fma_f32 v1, v1, 2.0, -v4
	v_bfe_u32 v7, v6, 16, 8
	v_lshl_or_b32 v7, v7, 3, v88
	v_lshlrev_b32_sdwa v8, v87, v6 dst_sel:DWORD dst_unused:UNUSED_PAD src0_sel:DWORD src1_sel:BYTE_0
	v_lshlrev_b32_sdwa v6, v87, v6 dst_sel:DWORD dst_unused:UNUSED_PAD src0_sel:DWORD src1_sel:BYTE_1
	s_waitcnt vmcnt(9)
	v_mul_f32_e32 v4, v40, v51
	v_mul_f32_e32 v3, v41, v51
	v_fmac_f32_e32 v4, v41, v50
	v_fma_f32 v3, v40, v50, -v3
	global_load_dwordx2 v[90:91], v7, s[0:1]
	global_load_dwordx2 v[92:93], v8, s[0:1]
	global_load_dwordx2 v[94:95], v6, s[0:1] offset:2048
	v_fma_f32 v2, v37, 2.0, -v38
	v_fma_f32 v7, v36, 2.0, -v0
	v_fma_f32 v8, v39, 2.0, -v43
	v_sub_f32_e32 v1, v2, v1
	s_waitcnt vmcnt(11)
	v_mul_f32_e32 v6, v4, v53
	v_fma_f32 v6, v52, v3, -v6
	v_mul_f32_e32 v3, v3, v53
	v_sub_f32_e32 v8, v7, v8
	v_fmac_f32_e32 v3, v52, v4
	v_mul_f32_e32 v37, v8, v3
	v_mul_f32_e32 v3, v1, v3
	v_fmac_f32_e32 v37, v1, v6
	v_fma_f32 v36, v8, v6, -v3
	v_fma_f32 v0, v0, 2.0, -v5
	v_fma_f32 v3, v38, 2.0, -v59
	v_mul_lo_u32 v43, v14, v84
	s_waitcnt vmcnt(8)
	v_mul_f32_e32 v6, v56, v61
	v_mul_f32_e32 v4, v57, v61
	v_fmac_f32_e32 v6, v57, v60
	v_fma_f32 v4, v56, v60, -v4
	v_mul_f32_e32 v9, v6, v55
	v_fma_f32 v9, v54, v4, -v9
	v_mul_f32_e32 v4, v4, v55
	v_fmac_f32_e32 v4, v54, v6
	v_mul_f32_e32 v39, v0, v4
	v_fmac_f32_e32 v39, v3, v9
	v_mul_f32_e32 v3, v3, v4
	v_fma_f32 v38, v0, v9, -v3
	v_fma_f32 v4, v2, 2.0, -v1
	s_waitcnt vmcnt(5)
	v_mul_f32_e32 v1, v66, v69
	v_or_b32_e32 v3, 64, v84
	v_mul_f32_e32 v0, v67, v69
	v_fmac_f32_e32 v1, v67, v68
	v_mul_lo_u32 v3, v14, v3
	v_fma_f32 v0, v66, v68, -v0
	v_mul_f32_e32 v2, v1, v65
	v_lshlrev_b32_sdwa v5, v87, v3 dst_sel:DWORD dst_unused:UNUSED_PAD src0_sel:DWORD src1_sel:BYTE_0
	v_lshlrev_b32_sdwa v6, v87, v3 dst_sel:DWORD dst_unused:UNUSED_PAD src0_sel:DWORD src1_sel:BYTE_1
	global_load_dwordx2 v[50:51], v5, s[0:1]
	global_load_dwordx2 v[60:61], v6, s[0:1] offset:2048
	v_fma_f32 v5, v64, v0, -v2
	v_bfe_u32 v2, v3, 16, 8
	v_lshl_or_b32 v2, v2, 3, v88
	v_fma_f32 v6, v7, 2.0, -v8
	v_mul_f32_e32 v7, v0, v65
	v_or_b32_e32 v0, 32, v83
	global_load_dwordx2 v[66:67], v2, s[0:1]
	v_mul_lo_u32 v0, v14, v0
	v_fmac_f32_e32 v7, v64, v1
	v_bfe_u32 v1, v0, 16, 8
	v_lshl_or_b32 v1, v1, 3, v88
	v_lshlrev_b32_sdwa v2, v87, v0 dst_sel:DWORD dst_unused:UNUSED_PAD src0_sel:DWORD src1_sel:BYTE_0
	v_lshlrev_b32_sdwa v0, v87, v0 dst_sel:DWORD dst_unused:UNUSED_PAD src0_sel:DWORD src1_sel:BYTE_1
	global_load_dwordx2 v[64:65], v1, s[0:1]
	global_load_dwordx2 v[68:69], v2, s[0:1]
	global_load_dwordx2 v[96:97], v0, s[0:1] offset:2048
	ds_read2st64_b64 v[0:3], v73 offset0:40 offset1:42
	v_mul_f32_e32 v41, v6, v7
	v_bfe_u32 v54, v43, 16, 8
	v_fmac_f32_e32 v41, v4, v5
	v_mul_f32_e32 v4, v4, v7
	s_waitcnt vmcnt(9) lgkmcnt(0)
	v_mul_f32_e32 v8, v2, v49
	v_fmac_f32_e32 v8, v3, v48
	v_lshl_or_b32 v54, v54, 3, v88
	v_fma_f32 v40, v6, v5, -v4
	ds_read2st64_b64 v[4:7], v73 offset0:24 offset1:26
	ds_read_b64 v[52:53], v42
	v_sub_f32_e32 v59, v45, v8
	ds_read2st64_b64 v[8:11], v73 offset0:56 offset1:58
	v_lshlrev_b32_sdwa v55, v87, v43 dst_sel:DWORD dst_unused:UNUSED_PAD src0_sel:DWORD src1_sel:BYTE_0
	v_lshlrev_b32_sdwa v43, v87, v43 dst_sel:DWORD dst_unused:UNUSED_PAD src0_sel:DWORD src1_sel:BYTE_1
	global_load_dwordx2 v[98:99], v54, s[0:1]
	global_load_dwordx2 v[100:101], v55, s[0:1]
	global_load_dwordx2 v[102:103], v43, s[0:1] offset:2048
	v_mul_f32_e32 v3, v3, v49
	s_waitcnt lgkmcnt(2)
	v_mul_f32_e32 v42, v7, v47
	v_fma_f32 v2, v2, v48, -v3
	v_fma_f32 v63, v6, v46, -v42
	s_waitcnt lgkmcnt(0)
	v_mul_f32_e32 v42, v11, v71
	v_sub_f32_e32 v48, v44, v2
	v_mul_f32_e32 v6, v6, v47
	v_mul_f32_e32 v2, v10, v71
	v_fma_f32 v42, v10, v70, -v42
	s_waitcnt vmcnt(9)
	v_mul_f32_e32 v43, v92, v95
	v_fmac_f32_e32 v6, v7, v46
	v_fmac_f32_e32 v2, v11, v70
	v_and_b32_e32 v83, 31, v82
	v_sub_f32_e32 v89, v63, v42
	v_mul_f32_e32 v42, v93, v95
	v_fmac_f32_e32 v43, v93, v94
	v_sub_f32_e32 v7, v6, v2
	v_mul_u32_u24_e32 v2, 3, v83
	v_fma_f32 v42, v92, v94, -v42
	v_mul_f32_e32 v54, v43, v91
	v_lshlrev_b32_e32 v10, 3, v2
	v_fma_f32 v49, v45, 2.0, -v59
	v_fma_f32 v45, v6, 2.0, -v7
	v_or_b32_e32 v6, 0x60, v82
	v_fma_f32 v92, v90, v42, -v54
	global_load_dwordx2 v[2:3], v10, s[12:13] offset:256
	global_load_dwordx4 v[54:57], v10, s[12:13] offset:240
	v_mul_f32_e32 v10, v42, v91
	v_mul_lo_u32 v6, v14, v6
	v_add_f32_e32 v104, v59, v89
	v_sub_f32_e32 v46, v48, v7
	v_fmac_f32_e32 v10, v90, v43
	v_bfe_u32 v7, v6, 16, 8
	v_mul_f32_e32 v43, v46, v10
	v_mul_f32_e32 v10, v104, v10
	v_lshl_or_b32 v47, v7, 3, v88
	v_fmac_f32_e32 v43, v104, v92
	v_fma_f32 v42, v46, v92, -v10
	v_lshlrev_b32_sdwa v90, v87, v6 dst_sel:DWORD dst_unused:UNUSED_PAD src0_sel:DWORD src1_sel:BYTE_0
	v_lshlrev_b32_sdwa v91, v87, v6 dst_sel:DWORD dst_unused:UNUSED_PAD src0_sel:DWORD src1_sel:BYTE_1
	global_load_dwordx2 v[6:7], v47, s[0:1]
	global_load_dwordx2 v[10:11], v90, s[0:1]
	global_load_dwordx2 v[70:71], v91, s[0:1] offset:2048
	v_sub_f32_e32 v92, v49, v45
	v_fma_f32 v46, v48, 2.0, -v46
	s_waitcnt vmcnt(12)
	v_mul_f32_e32 v45, v51, v61
	v_mul_f32_e32 v47, v50, v61
	v_fma_f32 v45, v50, v60, -v45
	v_fmac_f32_e32 v47, v51, v60
	v_fma_f32 v51, v44, 2.0, -v48
	v_fma_f32 v44, v63, 2.0, -v89
	v_sub_f32_e32 v63, v51, v44
	s_waitcnt vmcnt(11)
	v_mul_f32_e32 v44, v45, v67
	v_mul_f32_e32 v50, v47, v67
	v_fmac_f32_e32 v44, v66, v47
	v_fma_f32 v50, v66, v45, -v50
	v_mul_f32_e32 v45, v63, v44
	v_mul_f32_e32 v44, v92, v44
	v_fmac_f32_e32 v45, v92, v50
	v_fma_f32 v44, v63, v50, -v44
	v_fma_f32 v50, v59, 2.0, -v104
	s_waitcnt vmcnt(8)
	v_mul_f32_e32 v59, v68, v97
	v_mul_f32_e32 v47, v69, v97
	v_fmac_f32_e32 v59, v69, v96
	v_fma_f32 v47, v68, v96, -v47
	v_mul_f32_e32 v60, v59, v65
	v_fma_f32 v66, v64, v47, -v60
	v_or_b32_e32 v60, 64, v83
	v_mul_f32_e32 v48, v47, v65
	v_mul_lo_u32 v67, v14, v60
	v_fmac_f32_e32 v48, v64, v59
	v_lshlrev_b32_sdwa v68, v87, v67 dst_sel:DWORD dst_unused:UNUSED_PAD src0_sel:DWORD src1_sel:BYTE_0
	v_mul_f32_e32 v47, v46, v48
	v_lshlrev_b32_sdwa v69, v87, v67 dst_sel:DWORD dst_unused:UNUSED_PAD src0_sel:DWORD src1_sel:BYTE_1
	global_load_dwordx2 v[60:61], v68, s[0:1]
	global_load_dwordx2 v[90:91], v69, s[0:1] offset:2048
	v_fmac_f32_e32 v47, v50, v66
	v_mul_f32_e32 v48, v50, v48
	v_bfe_u32 v50, v67, 16, 8
	v_lshl_or_b32 v50, v50, 3, v88
	global_load_dwordx2 v[64:65], v50, s[0:1]
	v_fma_f32 v46, v46, v66, -v48
	v_fma_f32 v48, v49, 2.0, -v92
	s_waitcnt vmcnt(8)
	v_mul_f32_e32 v49, v101, v103
	v_fma_f32 v49, v100, v102, -v49
	v_mul_f32_e32 v50, v100, v103
	v_fmac_f32_e32 v50, v101, v102
	v_fma_f32 v51, v51, 2.0, -v63
	v_mul_f32_e32 v63, v49, v99
	v_mul_f32_e32 v59, v50, v99
	v_fmac_f32_e32 v63, v98, v50
	v_or_b32_e32 v50, 32, v82
	v_mul_lo_u32 v50, v14, v50
	v_bfe_u32 v66, v50, 16, 8
	v_lshl_or_b32 v66, v66, 3, v88
	v_lshlrev_b32_sdwa v67, v87, v50 dst_sel:DWORD dst_unused:UNUSED_PAD src0_sel:DWORD src1_sel:BYTE_0
	v_lshlrev_b32_sdwa v50, v87, v50 dst_sel:DWORD dst_unused:UNUSED_PAD src0_sel:DWORD src1_sel:BYTE_1
	v_fma_f32 v59, v98, v49, -v59
	v_mul_f32_e32 v49, v51, v63
	global_load_dwordx2 v[92:93], v66, s[0:1]
	global_load_dwordx2 v[94:95], v67, s[0:1]
	global_load_dwordx2 v[96:97], v50, s[0:1] offset:2048
	v_fmac_f32_e32 v49, v48, v59
	v_mul_f32_e32 v48, v48, v63
	v_fma_f32 v48, v51, v59, -v48
	v_mul_lo_u32 v51, v14, v83
	v_bfe_u32 v63, v51, 16, 8
	v_lshl_or_b32 v63, v63, 3, v88
	v_lshlrev_b32_sdwa v66, v87, v51 dst_sel:DWORD dst_unused:UNUSED_PAD src0_sel:DWORD src1_sel:BYTE_0
	v_lshlrev_b32_sdwa v51, v87, v51 dst_sel:DWORD dst_unused:UNUSED_PAD src0_sel:DWORD src1_sel:BYTE_1
	global_load_dwordx2 v[98:99], v63, s[0:1]
	global_load_dwordx2 v[100:101], v66, s[0:1]
	global_load_dwordx2 v[102:103], v51, s[0:1] offset:2048
	s_waitcnt vmcnt(12)
	v_mul_f32_e32 v50, v0, v57
	v_fmac_f32_e32 v50, v1, v56
	v_sub_f32_e32 v59, v53, v50
	v_mul_f32_e32 v50, v5, v55
	v_fma_f32 v63, v4, v54, -v50
	v_mul_f32_e32 v50, v9, v3
	v_fma_f32 v50, v8, v2, -v50
	v_and_b32_e32 v82, 31, v81
	v_sub_f32_e32 v89, v63, v50
	s_waitcnt vmcnt(9)
	v_mul_f32_e32 v50, v11, v71
	v_mul_u32_u24_e32 v51, 3, v82
	v_fma_f32 v50, v10, v70, -v50
	v_mul_f32_e32 v10, v10, v71
	v_lshlrev_b32_e32 v51, 3, v51
	v_fmac_f32_e32 v10, v11, v70
	v_mul_f32_e32 v1, v1, v57
	global_load_dwordx2 v[70:71], v51, s[12:13] offset:256
	global_load_dwordx4 v[66:69], v51, s[12:13] offset:240
	v_mul_f32_e32 v11, v10, v7
	v_fma_f32 v0, v0, v56, -v1
	v_mul_f32_e32 v1, v4, v55
	v_mul_f32_e32 v4, v50, v7
	v_fma_f32 v11, v6, v50, -v11
	v_mul_f32_e32 v3, v8, v3
	v_fmac_f32_e32 v4, v6, v10
	v_or_b32_e32 v6, 0x60, v81
	v_fmac_f32_e32 v1, v5, v54
	v_fmac_f32_e32 v3, v9, v2
	v_mul_lo_u32 v6, v14, v6
	v_sub_f32_e32 v0, v52, v0
	v_sub_f32_e32 v2, v1, v3
	v_bfe_u32 v7, v6, 16, 8
	v_add_f32_e32 v106, v59, v89
	v_sub_f32_e32 v3, v0, v2
	v_fma_f32 v1, v1, 2.0, -v2
	v_lshl_or_b32 v7, v7, 3, v88
	v_lshlrev_b32_sdwa v8, v87, v6 dst_sel:DWORD dst_unused:UNUSED_PAD src0_sel:DWORD src1_sel:BYTE_0
	v_lshlrev_b32_sdwa v6, v87, v6 dst_sel:DWORD dst_unused:UNUSED_PAD src0_sel:DWORD src1_sel:BYTE_1
	v_mul_f32_e32 v51, v3, v4
	v_mul_f32_e32 v4, v106, v4
	v_fma_f32 v50, v3, v11, -v4
	v_fma_f32 v4, v53, 2.0, -v59
	v_sub_f32_e32 v1, v4, v1
	v_fmac_f32_e32 v51, v106, v11
	v_fma_f32 v4, v4, 2.0, -v1
	s_waitcnt vmcnt(9)
	v_mul_f32_e32 v5, v60, v91
	v_mul_f32_e32 v2, v61, v91
	v_fmac_f32_e32 v5, v61, v90
	v_fma_f32 v2, v60, v90, -v2
	global_load_dwordx2 v[60:61], v7, s[0:1]
	global_load_dwordx2 v[90:91], v8, s[0:1]
	global_load_dwordx2 v[104:105], v6, s[0:1] offset:2048
	s_waitcnt vmcnt(11)
	v_mul_f32_e32 v6, v5, v65
	v_fma_f32 v6, v64, v2, -v6
	v_fma_f32 v7, v52, 2.0, -v0
	v_fma_f32 v8, v63, 2.0, -v89
	v_mul_f32_e32 v2, v2, v65
	v_sub_f32_e32 v8, v7, v8
	v_fmac_f32_e32 v2, v64, v5
	v_or_b32_e32 v5, 64, v82
	v_mul_f32_e32 v53, v8, v2
	v_mul_f32_e32 v2, v1, v2
	v_mul_lo_u32 v5, v14, v5
	v_fmac_f32_e32 v53, v1, v6
	v_fma_f32 v52, v8, v6, -v2
	v_lshlrev_b32_sdwa v6, v87, v5 dst_sel:DWORD dst_unused:UNUSED_PAD src0_sel:DWORD src1_sel:BYTE_0
	v_fma_f32 v2, v59, 2.0, -v106
	v_lshlrev_b32_sdwa v9, v87, v5 dst_sel:DWORD dst_unused:UNUSED_PAD src0_sel:DWORD src1_sel:BYTE_1
	global_load_dwordx2 v[106:107], v6, s[0:1]
	global_load_dwordx2 v[108:109], v9, s[0:1] offset:2048
	v_fma_f32 v0, v0, 2.0, -v3
	v_fma_f32 v7, v7, 2.0, -v8
	v_mul_lo_u32 v59, v14, v82
	s_waitcnt vmcnt(10)
	v_mul_f32_e32 v6, v95, v97
	v_fma_f32 v6, v94, v96, -v6
	v_mul_f32_e32 v9, v94, v97
	v_fmac_f32_e32 v9, v95, v96
	v_mul_f32_e32 v3, v6, v93
	v_mul_f32_e32 v10, v9, v93
	v_fmac_f32_e32 v3, v92, v9
	v_fma_f32 v10, v92, v6, -v10
	v_mul_f32_e32 v55, v0, v3
	v_fmac_f32_e32 v55, v2, v10
	v_mul_f32_e32 v2, v2, v3
	s_waitcnt vmcnt(7)
	v_mul_f32_e32 v1, v100, v103
	v_fma_f32 v54, v0, v10, -v2
	v_mul_f32_e32 v0, v101, v103
	v_fmac_f32_e32 v1, v101, v102
	v_fma_f32 v0, v100, v102, -v0
	v_mul_f32_e32 v2, v1, v99
	v_fma_f32 v6, v98, v0, -v2
	v_bfe_u32 v2, v5, 16, 8
	v_lshl_or_b32 v2, v2, 3, v88
	global_load_dwordx2 v[94:95], v2, s[0:1]
	v_mul_f32_e32 v5, v0, v99
	v_or_b32_e32 v9, 32, v81
	v_fmac_f32_e32 v5, v98, v1
	v_mul_lo_u32 v9, v14, v9
	ds_read2st64_b64 v[0:3], v73 offset0:36 offset1:38
	v_mul_f32_e32 v57, v7, v5
	v_bfe_u32 v10, v9, 16, 8
	v_fmac_f32_e32 v57, v4, v6
	v_mul_f32_e32 v4, v4, v5
	v_lshl_or_b32 v10, v10, 3, v88
	v_fma_f32 v56, v7, v6, -v4
	ds_read2st64_b64 v[4:7], v73 offset0:20 offset1:22
	v_lshlrev_b32_sdwa v11, v87, v9 dst_sel:DWORD dst_unused:UNUSED_PAD src0_sel:DWORD src1_sel:BYTE_0
	global_load_dwordx2 v[96:97], v10, s[0:1]
	global_load_dwordx2 v[98:99], v11, s[0:1]
	ds_read_b64 v[62:63], v62
	ds_read_b64 v[64:65], v58
	v_lshlrev_b32_sdwa v9, v87, v9 dst_sel:DWORD dst_unused:UNUSED_PAD src0_sel:DWORD src1_sel:BYTE_1
	global_load_dwordx2 v[100:101], v9, s[0:1] offset:2048
	s_waitcnt vmcnt(9) lgkmcnt(3)
	v_mul_f32_e32 v8, v2, v69
	v_fmac_f32_e32 v8, v3, v68
	v_bfe_u32 v81, v59, 16, 8
	s_waitcnt lgkmcnt(1)
	v_sub_f32_e32 v89, v63, v8
	v_mul_f32_e32 v8, v7, v67
	v_lshl_or_b32 v81, v81, 3, v88
	v_fma_f32 v58, v6, v66, -v8
	ds_read2st64_b64 v[8:11], v73 offset0:52 offset1:54
	v_lshlrev_b32_sdwa v92, v87, v59 dst_sel:DWORD dst_unused:UNUSED_PAD src0_sel:DWORD src1_sel:BYTE_0
	v_lshlrev_b32_sdwa v59, v87, v59 dst_sel:DWORD dst_unused:UNUSED_PAD src0_sel:DWORD src1_sel:BYTE_1
	global_load_dwordx2 v[102:103], v81, s[0:1]
	global_load_dwordx2 v[110:111], v92, s[0:1]
	global_load_dwordx2 v[112:113], v59, s[0:1] offset:2048
	v_mul_f32_e32 v3, v3, v69
	s_waitcnt lgkmcnt(0)
	v_mul_f32_e32 v59, v11, v71
	v_fma_f32 v2, v2, v68, -v3
	v_fma_f32 v59, v10, v70, -v59
	v_sub_f32_e32 v117, v62, v2
	v_mul_f32_e32 v10, v10, v71
	v_fmac_f32_e32 v10, v11, v70
	v_sub_f32_e32 v59, v58, v59
	v_fma_f32 v63, v63, 2.0, -v89
	s_waitcnt vmcnt(9)
	v_mul_f32_e32 v81, v91, v105
	v_fma_f32 v115, v90, v104, -v81
	v_and_b32_e32 v81, 31, v80
	v_mul_f32_e32 v105, v90, v105
	v_mul_u32_u24_e32 v3, 3, v81
	v_fmac_f32_e32 v105, v91, v104
	v_lshlrev_b32_e32 v3, 3, v3
	global_load_dwordx2 v[68:69], v3, s[12:13] offset:256
	global_load_dwordx4 v[90:93], v3, s[12:13] offset:240
	v_mul_f32_e32 v3, v105, v61
	v_fma_f32 v116, v60, v115, -v3
	v_mul_f32_e32 v104, v6, v67
	v_fmac_f32_e32 v104, v7, v66
	v_fma_f32 v62, v62, 2.0, -v117
	v_fma_f32 v58, v58, 2.0, -v59
	v_add_f32_e32 v114, v89, v59
	s_waitcnt vmcnt(9)
	v_mul_f32_e32 v2, v107, v109
	v_fma_f32 v70, v106, v108, -v2
	v_or_b32_e32 v2, 0x60, v80
	v_mul_lo_u32 v2, v14, v2
	v_bfe_u32 v3, v2, 16, 8
	v_mul_f32_e32 v71, v106, v109
	v_lshl_or_b32 v11, v3, 3, v88
	v_fmac_f32_e32 v71, v107, v108
	v_lshlrev_b32_sdwa v106, v87, v2 dst_sel:DWORD dst_unused:UNUSED_PAD src0_sel:DWORD src1_sel:BYTE_0
	v_lshlrev_b32_sdwa v107, v87, v2 dst_sel:DWORD dst_unused:UNUSED_PAD src0_sel:DWORD src1_sel:BYTE_1
	global_load_dwordx2 v[2:3], v11, s[0:1]
	global_load_dwordx2 v[6:7], v106, s[0:1]
	global_load_dwordx2 v[66:67], v107, s[0:1] offset:2048
	v_sub_f32_e32 v106, v104, v10
	v_mul_f32_e32 v10, v115, v61
	v_fma_f32 v61, v104, 2.0, -v106
	v_fmac_f32_e32 v10, v60, v105
	v_sub_f32_e32 v60, v117, v106
	v_sub_f32_e32 v106, v63, v61
	v_sub_f32_e32 v107, v62, v58
	v_mul_f32_e32 v11, v60, v10
	v_mul_f32_e32 v10, v114, v10
	v_fma_f32 v10, v60, v116, -v10
	v_fma_f32 v60, v117, 2.0, -v60
	v_fma_f32 v62, v62, 2.0, -v107
	v_or_b32_e32 v80, 32, v80
	s_waitcnt vmcnt(11)
	v_mul_f32_e32 v61, v71, v95
	v_fma_f32 v61, v94, v70, -v61
	v_mul_f32_e32 v58, v70, v95
	v_or_b32_e32 v70, 64, v81
	v_mul_lo_u32 v70, v14, v70
	v_fmac_f32_e32 v58, v94, v71
	v_lshlrev_b32_sdwa v71, v87, v70 dst_sel:DWORD dst_unused:UNUSED_PAD src0_sel:DWORD src1_sel:BYTE_0
	v_lshlrev_b32_sdwa v108, v87, v70 dst_sel:DWORD dst_unused:UNUSED_PAD src0_sel:DWORD src1_sel:BYTE_1
	global_load_dwordx2 v[94:95], v71, s[0:1]
	global_load_dwordx2 v[104:105], v108, s[0:1] offset:2048
	v_mul_f32_e32 v59, v107, v58
	v_mul_f32_e32 v58, v106, v58
	v_fma_f32 v58, v107, v61, -v58
	v_fmac_f32_e32 v59, v106, v61
	v_fma_f32 v71, v89, 2.0, -v114
	v_mul_lo_u32 v80, v14, v80
	v_fmac_f32_e32 v11, v114, v116
	s_waitcnt vmcnt(10)
	v_mul_f32_e32 v61, v99, v101
	v_mul_f32_e32 v89, v98, v101
	v_fma_f32 v61, v98, v100, -v61
	v_fmac_f32_e32 v89, v99, v100
	v_mul_f32_e32 v98, v89, v97
	v_mul_f32_e32 v97, v61, v97
	v_fmac_f32_e32 v97, v96, v89
	v_fma_f32 v98, v96, v61, -v98
	v_mul_f32_e32 v61, v60, v97
	v_fmac_f32_e32 v61, v71, v98
	v_mul_f32_e32 v71, v71, v97
	s_waitcnt vmcnt(7)
	v_mul_f32_e32 v89, v110, v113
	v_fma_f32 v60, v60, v98, -v71
	v_fma_f32 v71, v63, 2.0, -v106
	v_mul_f32_e32 v63, v111, v113
	v_fmac_f32_e32 v89, v111, v112
	v_fma_f32 v63, v110, v112, -v63
	v_mul_f32_e32 v96, v89, v103
	v_fma_f32 v98, v102, v63, -v96
	v_mul_f32_e32 v99, v63, v103
	v_bfe_u32 v63, v70, 16, 8
	v_lshl_or_b32 v63, v63, 3, v88
	global_load_dwordx2 v[96:97], v63, s[0:1]
	v_fmac_f32_e32 v99, v102, v89
	v_mul_f32_e32 v63, v62, v99
	v_mul_f32_e32 v70, v71, v99
	v_fmac_f32_e32 v63, v71, v98
	v_fma_f32 v62, v62, v98, -v70
	ds_read_b64 v[70:71], v79
	s_waitcnt vmcnt(6)
	v_mul_f32_e32 v79, v5, v91
	v_bfe_u32 v98, v80, 16, 8
	v_fma_f32 v120, v4, v90, -v79
	v_mul_f32_e32 v79, v9, v69
	v_lshl_or_b32 v102, v98, 3, v88
	v_lshlrev_b32_sdwa v103, v87, v80 dst_sel:DWORD dst_unused:UNUSED_PAD src0_sel:DWORD src1_sel:BYTE_0
	v_lshlrev_b32_sdwa v80, v87, v80 dst_sel:DWORD dst_unused:UNUSED_PAD src0_sel:DWORD src1_sel:BYTE_1
	v_fma_f32 v79, v8, v68, -v79
	global_load_dwordx2 v[98:99], v102, s[0:1]
	global_load_dwordx2 v[100:101], v103, s[0:1]
	v_mul_f32_e32 v89, v0, v93
	global_load_dwordx2 v[102:103], v80, s[0:1] offset:2048
	v_sub_f32_e32 v80, v120, v79
	v_fmac_f32_e32 v89, v1, v92
	v_mul_f32_e32 v1, v1, v93
	v_fma_f32 v0, v0, v92, -v1
	v_mul_f32_e32 v1, v4, v91
	v_mul_f32_e32 v4, v8, v69
	v_or_b32_e32 v8, 0x60, v19
	v_mul_lo_u32 v8, v14, v8
	s_waitcnt vmcnt(6)
	v_mul_f32_e32 v79, v7, v67
	v_fma_f32 v121, v6, v66, -v79
	v_mul_f32_e32 v67, v6, v67
	v_mul_lo_u32 v6, v14, v81
	v_fmac_f32_e32 v67, v7, v66
	v_bfe_u32 v7, v6, 16, 8
	v_lshl_or_b32 v66, v7, 3, v88
	v_lshlrev_b32_sdwa v79, v87, v6 dst_sel:DWORD dst_unused:UNUSED_PAD src0_sel:DWORD src1_sel:BYTE_0
	v_lshlrev_b32_sdwa v110, v87, v6 dst_sel:DWORD dst_unused:UNUSED_PAD src0_sel:DWORD src1_sel:BYTE_1
	global_load_dwordx2 v[6:7], v66, s[0:1]
	global_load_dwordx2 v[106:107], v79, s[0:1]
	global_load_dwordx2 v[108:109], v110, s[0:1] offset:2048
	v_and_b32_e32 v79, 31, v19
	v_fmac_f32_e32 v1, v5, v90
	v_fmac_f32_e32 v4, v9, v68
	v_mul_u32_u24_e32 v5, 3, v79
	v_bfe_u32 v9, v8, 16, 8
	v_lshlrev_b32_e32 v5, 3, v5
	v_lshl_or_b32 v9, v9, 3, v88
	v_lshlrev_b32_sdwa v68, v87, v8 dst_sel:DWORD dst_unused:UNUSED_PAD src0_sel:DWORD src1_sel:BYTE_0
	v_lshlrev_b32_sdwa v8, v87, v8 dst_sel:DWORD dst_unused:UNUSED_PAD src0_sel:DWORD src1_sel:BYTE_1
	global_load_dwordx2 v[110:111], v5, s[12:13] offset:256
	global_load_dwordx4 v[90:93], v5, s[12:13] offset:240
	global_load_dwordx2 v[112:113], v9, s[0:1]
	global_load_dwordx2 v[114:115], v68, s[0:1]
	global_load_dwordx2 v[116:117], v8, s[0:1] offset:2048
	v_or_b32_e32 v8, 64, v79
	v_mul_lo_u32 v127, v14, v8
	s_waitcnt vmcnt(12)
	v_mul_f32_e32 v5, v95, v105
	v_mul_f32_e32 v68, v94, v105
	v_lshlrev_b32_sdwa v8, v87, v127 dst_sel:DWORD dst_unused:UNUSED_PAD src0_sel:DWORD src1_sel:BYTE_0
	v_fma_f32 v5, v94, v104, -v5
	v_fmac_f32_e32 v68, v95, v104
	v_lshlrev_b32_sdwa v9, v87, v127 dst_sel:DWORD dst_unused:UNUSED_PAD src0_sel:DWORD src1_sel:BYTE_1
	global_load_dwordx2 v[104:105], v8, s[0:1]
	global_load_dwordx2 v[118:119], v9, s[0:1] offset:2048
	v_sub_f32_e32 v89, v65, v89
	v_mul_f32_e32 v66, v67, v3
	v_sub_f32_e32 v0, v64, v0
	v_sub_f32_e32 v4, v1, v4
	v_mul_f32_e32 v3, v121, v3
	v_add_f32_e32 v126, v89, v80
	v_fma_f32 v66, v2, v121, -v66
	v_fmac_f32_e32 v3, v2, v67
	v_sub_f32_e32 v2, v0, v4
	v_mul_f32_e32 v9, v2, v3
	v_mul_f32_e32 v3, v126, v3
	v_fma_f32 v1, v1, 2.0, -v4
	v_fma_f32 v8, v2, v66, -v3
	v_fma_f32 v3, v65, 2.0, -v89
	v_fma_f32 v69, v64, 2.0, -v0
	;; [unrolled: 1-line block ×3, first 2 shown]
	v_sub_f32_e32 v1, v3, v1
	v_sub_f32_e32 v80, v69, v64
	v_fmac_f32_e32 v9, v126, v66
	v_fma_f32 v0, v0, 2.0, -v2
	s_waitcnt vmcnt(13)
	v_mul_f32_e32 v4, v68, v97
	v_fma_f32 v4, v96, v5, -v4
	v_mul_f32_e32 v5, v5, v97
	v_fmac_f32_e32 v5, v96, v68
	v_mul_f32_e32 v65, v80, v5
	v_mul_f32_e32 v5, v1, v5
	v_fma_f32 v64, v80, v4, -v5
	v_or_b32_e32 v5, 32, v19
	v_mul_lo_u32 v5, v14, v5
	v_bfe_u32 v19, v5, 16, 8
	v_lshlrev_b32_sdwa v66, v87, v5 dst_sel:DWORD dst_unused:UNUSED_PAD src0_sel:DWORD src1_sel:BYTE_0
	v_lshlrev_b32_sdwa v5, v87, v5 dst_sel:DWORD dst_unused:UNUSED_PAD src0_sel:DWORD src1_sel:BYTE_1
	v_lshl_or_b32 v19, v19, 3, v88
	global_load_dwordx2 v[120:121], v5, s[0:1] offset:2048
	global_load_dwordx2 v[122:123], v66, s[0:1]
	global_load_dwordx2 v[124:125], v19, s[0:1]
	v_fmac_f32_e32 v65, v1, v4
	v_fma_f32 v4, v89, 2.0, -v126
	ds_read2st64_b64 v[94:97], v73 offset0:32 offset1:34
	s_waitcnt vmcnt(13)
	v_mul_f32_e32 v5, v101, v103
	v_fma_f32 v5, v100, v102, -v5
	v_mul_f32_e32 v19, v100, v103
	v_fmac_f32_e32 v19, v101, v102
	v_mul_f32_e32 v2, v5, v99
	v_mul_f32_e32 v66, v19, v99
	v_fmac_f32_e32 v2, v98, v19
	v_fma_f32 v66, v98, v5, -v66
	v_mul_f32_e32 v67, v0, v2
	v_mul_f32_e32 v2, v4, v2
	v_fmac_f32_e32 v67, v4, v66
	v_fma_f32 v66, v0, v66, -v2
	v_fma_f32 v0, v3, 2.0, -v1
	v_fma_f32 v4, v69, 2.0, -v80
	ds_read_b64 v[98:99], v78
	s_waitcnt vmcnt(10)
	v_mul_f32_e32 v2, v106, v109
	v_mul_f32_e32 v1, v107, v109
	v_fmac_f32_e32 v2, v107, v108
	v_fma_f32 v1, v106, v108, -v1
	v_mul_f32_e32 v3, v2, v7
	v_fma_f32 v3, v6, v1, -v3
	v_mul_f32_e32 v1, v1, v7
	v_fmac_f32_e32 v1, v6, v2
	v_mul_f32_e32 v69, v4, v1
	v_fmac_f32_e32 v69, v0, v3
	v_mul_f32_e32 v0, v0, v1
	v_fma_f32 v68, v4, v3, -v0
	ds_read2st64_b64 v[0:3], v73 offset1:18
	s_waitcnt vmcnt(8) lgkmcnt(2)
	v_mul_f32_e32 v4, v96, v93
	v_fmac_f32_e32 v4, v97, v92
	v_sub_f32_e32 v19, v71, v4
	v_mul_f32_e32 v93, v97, v93
	s_waitcnt lgkmcnt(0)
	v_mul_f32_e32 v4, v3, v91
	v_fma_f32 v78, v2, v90, -v4
	ds_read2st64_b64 v[4:7], v73 offset0:48 offset1:50
	v_mul_f32_e32 v106, v2, v91
	s_waitcnt vmcnt(3)
	v_mul_f32_e32 v2, v105, v119
	v_bfe_u32 v73, v127, 16, 8
	v_fma_f32 v107, v104, v118, -v2
	v_mul_lo_u32 v2, v14, v79
	v_lshl_or_b32 v73, v73, 3, v88
	v_fmac_f32_e32 v106, v3, v90
	v_bfe_u32 v3, v2, 16, 8
	global_load_dwordx2 v[100:101], v73, s[0:1]
	v_mul_f32_e32 v108, v104, v119
	v_lshl_or_b32 v3, v3, 3, v88
	v_fma_f32 v92, v96, v92, -v93
	v_fmac_f32_e32 v108, v105, v118
	v_lshlrev_b32_sdwa v90, v87, v2 dst_sel:DWORD dst_unused:UNUSED_PAD src0_sel:DWORD src1_sel:BYTE_0
	v_lshlrev_b32_sdwa v2, v87, v2 dst_sel:DWORD dst_unused:UNUSED_PAD src0_sel:DWORD src1_sel:BYTE_1
	global_load_dwordx2 v[96:97], v3, s[0:1]
	global_load_dwordx2 v[102:103], v90, s[0:1]
	global_load_dwordx2 v[104:105], v2, s[0:1] offset:2048
	s_waitcnt lgkmcnt(0)
	v_mul_f32_e32 v89, v7, v111
	v_fma_f32 v2, v6, v110, -v89
	v_sub_f32_e32 v89, v78, v2
	v_mul_f32_e32 v2, v6, v111
	v_fmac_f32_e32 v2, v7, v110
	v_sub_f32_e32 v110, v70, v92
	global_load_dwordx4 v[90:93], v86, s[12:13] offset:240
	v_mul_f32_e32 v73, v115, v117
	v_mul_f32_e32 v80, v114, v117
	v_fma_f32 v73, v114, v116, -v73
	v_fmac_f32_e32 v80, v115, v116
	v_mul_f32_e32 v3, v80, v113
	v_sub_f32_e32 v7, v106, v2
	v_mul_f32_e32 v2, v73, v113
	v_add_f32_e32 v109, v19, v89
	v_fma_f32 v6, v112, v73, -v3
	v_fmac_f32_e32 v2, v112, v80
	v_sub_f32_e32 v73, v110, v7
	v_mul_f32_e32 v3, v73, v2
	v_mul_f32_e32 v2, v109, v2
	v_fmac_f32_e32 v3, v109, v6
	v_fma_f32 v2, v73, v6, -v2
	s_waitcnt vmcnt(6)
	v_mul_f32_e32 v6, v123, v121
	v_fma_f32 v113, v70, 2.0, -v110
	v_fma_f32 v80, v122, v120, -v6
	v_fma_f32 v106, v106, 2.0, -v7
	global_load_dwordx2 v[6:7], v86, s[12:13] offset:256
	v_mul_f32_e32 v111, v122, v121
	v_fma_f32 v78, v78, 2.0, -v89
	v_fmac_f32_e32 v111, v123, v120
	v_fma_f32 v112, v71, 2.0, -v19
	v_fma_f32 v19, v19, 2.0, -v109
	;; [unrolled: 1-line block ×3, first 2 shown]
	v_sub_f32_e32 v78, v113, v78
	s_waitcnt vmcnt(5)
	v_mul_f32_e32 v70, v108, v101
	v_fma_f32 v86, v100, v107, -v70
	v_mul_f32_e32 v89, v107, v101
	v_fmac_f32_e32 v89, v100, v108
	v_mul_lo_u32 v108, v14, v16
	s_waitcnt vmcnt(2)
	v_mul_f32_e32 v70, v103, v105
	v_fma_f32 v114, v102, v104, -v70
	v_mul_lo_u32 v70, v14, v20
	v_lshlrev_b32_sdwa v100, v87, v70 dst_sel:DWORD dst_unused:UNUSED_PAD src0_sel:DWORD src1_sel:BYTE_0
	v_lshlrev_b32_sdwa v101, v87, v70 dst_sel:DWORD dst_unused:UNUSED_PAD src0_sel:DWORD src1_sel:BYTE_1
	v_bfe_u32 v70, v70, 16, 8
	v_mul_f32_e32 v115, v102, v105
	v_lshl_or_b32 v102, v70, 3, v88
	v_mul_f32_e32 v70, v111, v125
	v_fma_f32 v107, v124, v80, -v70
	s_waitcnt vmcnt(1)
	v_mul_f32_e32 v70, v93, v95
	v_mul_f32_e32 v80, v80, v125
	;; [unrolled: 1-line block ×3, first 2 shown]
	v_fma_f32 v117, v92, v94, -v70
	v_bfe_u32 v94, v108, 16, 8
	v_fmac_f32_e32 v115, v103, v104
	v_fmac_f32_e32 v80, v124, v111
	v_lshl_or_b32 v103, v94, 3, v88
	v_fmac_f32_e32 v116, v92, v95
	global_load_dwordx2 v[70:71], v100, s[0:1]
	global_load_dwordx2 v[92:93], v101, s[0:1] offset:2048
	global_load_dwordx2 v[94:95], v103, s[0:1]
	s_nop 0
	global_load_dwordx2 v[100:101], v102, s[0:1]
	v_sub_f32_e32 v111, v112, v106
	v_mul_f32_e32 v103, v73, v80
	v_mul_f32_e32 v80, v19, v80
	v_fma_f32 v102, v73, v107, -v80
	v_mul_f32_e32 v73, v111, v89
	v_fma_f32 v104, v78, v86, -v73
	v_lshlrev_b32_sdwa v73, v87, v108 dst_sel:DWORD dst_unused:UNUSED_PAD src0_sel:DWORD src1_sel:BYTE_0
	v_lshlrev_b32_sdwa v80, v87, v108 dst_sel:DWORD dst_unused:UNUSED_PAD src0_sel:DWORD src1_sel:BYTE_1
	v_fmac_f32_e32 v103, v19, v107
	global_load_dwordx2 v[106:107], v73, s[0:1]
	global_load_dwordx2 v[108:109], v80, s[0:1] offset:2048
	v_mul_f32_e32 v105, v78, v89
	v_fmac_f32_e32 v105, v111, v86
	v_mul_lo_u32 v86, v14, v18
	v_fma_f32 v19, v112, 2.0, -v111
	v_mul_f32_e32 v73, v91, v99
	v_mul_f32_e32 v80, v91, v98
	v_bfe_u32 v89, v86, 16, 8
	v_lshlrev_b32_sdwa v112, v87, v86 dst_sel:DWORD dst_unused:UNUSED_PAD src0_sel:DWORD src1_sel:BYTE_0
	v_lshlrev_b32_sdwa v86, v87, v86 dst_sel:DWORD dst_unused:UNUSED_PAD src0_sel:DWORD src1_sel:BYTE_1
	v_fma_f32 v73, v90, v98, -v73
	v_fmac_f32_e32 v80, v90, v99
	v_lshl_or_b32 v89, v89, 3, v88
	global_load_dwordx2 v[90:91], v86, s[0:1] offset:2048
	global_load_dwordx2 v[98:99], v112, s[0:1]
	global_load_dwordx2 v[110:111], v89, s[0:1]
	v_mul_f32_e32 v86, v115, v97
	v_fma_f32 v118, v96, v114, -v86
	v_mul_f32_e32 v86, v114, v97
	v_fma_f32 v78, v113, 2.0, -v78
	v_fmac_f32_e32 v86, v96, v115
	v_mul_lo_u32 v14, v14, v12
	v_mul_f32_e32 v89, v78, v86
	v_lshlrev_b32_sdwa v113, v87, v14 dst_sel:DWORD dst_unused:UNUSED_PAD src0_sel:DWORD src1_sel:BYTE_1
	v_fmac_f32_e32 v89, v19, v118
	v_mul_f32_e32 v19, v19, v86
	v_lshlrev_b32_sdwa v112, v87, v14 dst_sel:DWORD dst_unused:UNUSED_PAD src0_sel:DWORD src1_sel:BYTE_0
	global_load_dwordx2 v[86:87], v113, s[0:1] offset:2048
	global_load_dwordx2 v[96:97], v112, s[0:1]
	v_bfe_u32 v14, v14, 16, 8
	v_lshl_or_b32 v14, v14, 3, v88
	global_load_dwordx2 v[112:113], v14, s[0:1]
	v_fma_f32 v88, v78, v118, -v19
	s_waitcnt vmcnt(12)
	v_mul_f32_e32 v19, v5, v7
	v_fma_f32 v19, v6, v4, -v19
	v_mul_f32_e32 v4, v7, v4
	v_fmac_f32_e32 v4, v5, v6
	v_sub_f32_e32 v14, v1, v116
	v_sub_f32_e32 v6, v80, v4
	v_fma_f32 v1, v1, 2.0, -v14
	v_sub_f32_e32 v19, v73, v19
	s_waitcnt vmcnt(10)
	v_mul_f32_e32 v78, v71, v93
	v_fma_f32 v78, v70, v92, -v78
	v_mul_f32_e32 v70, v70, v93
	v_fmac_f32_e32 v70, v71, v92
	v_sub_f32_e32 v93, v0, v117
	s_waitcnt vmcnt(8)
	v_mul_f32_e32 v92, v70, v101
	v_sub_f32_e32 v114, v93, v6
	v_fma_f32 v6, v80, 2.0, -v6
	v_fma_f32 v92, v100, v78, -v92
	v_mul_f32_e32 v4, v78, v101
	v_sub_f32_e32 v78, v1, v6
	s_waitcnt vmcnt(6)
	v_mul_f32_e32 v7, v106, v109
	v_mul_f32_e32 v6, v107, v109
	v_fmac_f32_e32 v7, v107, v108
	v_fmac_f32_e32 v4, v100, v70
	v_fma_f32 v6, v106, v108, -v6
	v_mul_f32_e32 v70, v7, v95
	v_add_f32_e32 v71, v14, v19
	v_fma_f32 v70, v94, v6, -v70
	v_fma_f32 v0, v0, 2.0, -v93
	v_fma_f32 v19, v73, 2.0, -v19
	v_mul_f32_e32 v6, v6, v95
	v_mul_f32_e32 v5, v114, v4
	v_sub_f32_e32 v19, v0, v19
	v_fmac_f32_e32 v6, v94, v7
	v_fmac_f32_e32 v5, v71, v92
	v_mul_f32_e32 v4, v71, v4
	v_mul_f32_e32 v7, v19, v6
	v_mul_f32_e32 v6, v78, v6
	v_fma_f32 v14, v14, 2.0, -v71
	s_waitcnt vmcnt(4)
	v_mul_f32_e32 v71, v98, v91
	v_fmac_f32_e32 v7, v78, v70
	v_fma_f32 v6, v19, v70, -v6
	v_mul_f32_e32 v70, v99, v91
	v_fmac_f32_e32 v71, v99, v90
	v_fma_f32 v70, v98, v90, -v70
	s_waitcnt vmcnt(3)
	v_mul_f32_e32 v73, v71, v111
	v_fma_f32 v73, v110, v70, -v73
	v_mul_f32_e32 v70, v70, v111
	v_fma_f32 v80, v93, 2.0, -v114
	v_fmac_f32_e32 v70, v110, v71
	v_mul_f32_e32 v71, v80, v70
	v_fmac_f32_e32 v71, v14, v73
	v_mul_f32_e32 v14, v14, v70
	v_fma_f32 v70, v80, v73, -v14
	s_waitcnt vmcnt(1)
	v_mul_f32_e32 v73, v96, v87
	v_mul_f32_e32 v14, v97, v87
	v_fmac_f32_e32 v73, v97, v86
	v_fma_f32 v1, v1, 2.0, -v78
	v_fma_f32 v14, v96, v86, -v14
	s_waitcnt vmcnt(0)
	v_mul_f32_e32 v78, v73, v113
	v_fma_f32 v78, v112, v14, -v78
	v_mul_f32_e32 v14, v14, v113
	v_fma_f32 v0, v0, 2.0, -v19
	v_fmac_f32_e32 v14, v112, v73
	v_mul_f32_e32 v87, v0, v14
	v_fmac_f32_e32 v87, v1, v78
	v_mul_f32_e32 v1, v1, v14
	v_fma_f32 v86, v0, v78, -v1
	v_mad_u64_u32 v[0:1], s[0:1], s4, v13, 0
	v_mov_b32_e32 v14, v1
	v_mad_u64_u32 v[90:91], s[0:1], s5, v13, v[14:15]
	v_mul_lo_u32 v14, s9, v12
	v_mad_u64_u32 v[12:13], s[0:1], s8, v12, 0
	s_lshl_b64 s[0:1], s[6:7], 3
	s_add_u32 s0, s10, s0
	v_mov_b32_e32 v1, v90
	v_mul_lo_u32 v19, s8, v25
	s_addc_u32 s1, s11, s1
	v_add3_u32 v13, v13, v19, v14
	v_lshl_add_u64 v[0:1], v[0:1], 3, s[0:1]
	v_lshl_add_u64 v[12:13], v[12:13], 3, v[0:1]
	global_store_dwordx2 v[12:13], v[86:87], off
	v_mul_lo_u32 v14, s9, v18
	v_mul_lo_u32 v19, s8, v23
	v_mad_u64_u32 v[12:13], s[0:1], s8, v18, 0
	v_add3_u32 v13, v13, v19, v14
	v_lshl_add_u64 v[12:13], v[12:13], 3, v[0:1]
	global_store_dwordx2 v[12:13], v[70:71], off
	v_mul_lo_u32 v14, s9, v16
	v_mad_u64_u32 v[12:13], s[0:1], s8, v16, 0
	v_add3_u32 v13, v13, v17, v14
	v_lshl_add_u64 v[12:13], v[12:13], 3, v[0:1]
	global_store_dwordx2 v[12:13], v[6:7], off
	v_mul_lo_u32 v12, s9, v20
	v_mul_lo_u32 v13, s8, v21
	v_mad_u64_u32 v[6:7], s[0:1], s8, v20, 0
	v_add3_u32 v7, v7, v13, v12
	s_movk_i32 s0, 0x80
	v_fma_f32 v4, v114, v92, -v4
	v_lshl_add_u64 v[6:7], v[6:7], 3, v[0:1]
	v_and_or_b32 v12, v75, s0, v79
	global_store_dwordx2 v[6:7], v[4:5], off
	v_mad_u64_u32 v[4:5], s[2:3], s8, v12, 0
	v_mov_b32_e32 v6, v5
	v_mad_u64_u32 v[6:7], s[2:3], s9, v12, v[6:7]
	v_mov_b32_e32 v5, v6
	v_lshl_add_u64 v[4:5], v[4:5], 3, v[0:1]
	v_or_b32_e32 v7, 32, v12
	global_store_dwordx2 v[4:5], v[88:89], off
	v_mad_u64_u32 v[4:5], s[2:3], s8, v7, 0
	v_mov_b32_e32 v6, v5
	v_mad_u64_u32 v[6:7], s[2:3], s9, v7, v[6:7]
	v_mov_b32_e32 v5, v6
	v_lshl_add_u64 v[4:5], v[4:5], 3, v[0:1]
	v_or_b32_e32 v7, 64, v12
	global_store_dwordx2 v[4:5], v[102:103], off
	v_mad_u64_u32 v[4:5], s[2:3], s8, v7, 0
	v_mov_b32_e32 v6, v5
	v_mad_u64_u32 v[6:7], s[2:3], s9, v7, v[6:7]
	v_mov_b32_e32 v5, v6
	v_lshl_add_u64 v[4:5], v[4:5], 3, v[0:1]
	v_or_b32_e32 v7, 0x60, v12
	global_store_dwordx2 v[4:5], v[104:105], off
	v_mad_u64_u32 v[4:5], s[2:3], s8, v7, 0
	v_mov_b32_e32 v6, v5
	v_mad_u64_u32 v[6:7], s[2:3], s9, v7, v[6:7]
	v_mov_b32_e32 v5, v6
	v_lshl_add_u64 v[4:5], v[4:5], 3, v[0:1]
	v_and_or_b32 v6, v77, s0, v81
	global_store_dwordx2 v[4:5], v[2:3], off
	v_mad_u64_u32 v[2:3], s[2:3], s8, v6, 0
	v_mov_b32_e32 v4, v3
	v_mad_u64_u32 v[4:5], s[2:3], s9, v6, v[4:5]
	v_mov_b32_e32 v3, v4
	v_lshl_add_u64 v[2:3], v[2:3], 3, v[0:1]
	v_or_b32_e32 v5, 32, v6
	global_store_dwordx2 v[2:3], v[68:69], off
	v_mad_u64_u32 v[2:3], s[2:3], s8, v5, 0
	v_mov_b32_e32 v4, v3
	v_mad_u64_u32 v[4:5], s[2:3], s9, v5, v[4:5]
	v_mov_b32_e32 v3, v4
	v_lshl_add_u64 v[2:3], v[2:3], 3, v[0:1]
	v_or_b32_e32 v5, 64, v6
	global_store_dwordx2 v[2:3], v[66:67], off
	v_mad_u64_u32 v[2:3], s[2:3], s8, v5, 0
	v_mov_b32_e32 v4, v3
	v_mad_u64_u32 v[4:5], s[2:3], s9, v5, v[4:5]
	v_mov_b32_e32 v3, v4
	v_lshl_add_u64 v[2:3], v[2:3], 3, v[0:1]
	v_or_b32_e32 v5, 0x60, v6
	global_store_dwordx2 v[2:3], v[64:65], off
	v_mad_u64_u32 v[2:3], s[2:3], s8, v5, 0
	v_mov_b32_e32 v4, v3
	v_mad_u64_u32 v[4:5], s[2:3], s9, v5, v[4:5]
	v_mov_b32_e32 v3, v4
	;; [unrolled: 28-line block ×7, first 2 shown]
	v_lshl_add_u64 v[0:1], v[2:3], 3, v[0:1]
	global_store_dwordx2 v[0:1], v[26:27], off
.LBB0_12:
	s_endpgm
	.section	.rodata,"a",@progbits
	.p2align	6, 0x0
	.amdhsa_kernel fft_rtc_fwd_len128_factors_2_4_4_4_wgs_128_tpt_4_dim2_sp_ip_CI_sbcc_twdbase8_3step_dirReg
		.amdhsa_group_segment_fixed_size 0
		.amdhsa_private_segment_fixed_size 0
		.amdhsa_kernarg_size 88
		.amdhsa_user_sgpr_count 2
		.amdhsa_user_sgpr_dispatch_ptr 0
		.amdhsa_user_sgpr_queue_ptr 0
		.amdhsa_user_sgpr_kernarg_segment_ptr 1
		.amdhsa_user_sgpr_dispatch_id 0
		.amdhsa_user_sgpr_kernarg_preload_length 0
		.amdhsa_user_sgpr_kernarg_preload_offset 0
		.amdhsa_user_sgpr_private_segment_size 0
		.amdhsa_uses_dynamic_stack 0
		.amdhsa_enable_private_segment 0
		.amdhsa_system_sgpr_workgroup_id_x 1
		.amdhsa_system_sgpr_workgroup_id_y 0
		.amdhsa_system_sgpr_workgroup_id_z 0
		.amdhsa_system_sgpr_workgroup_info 0
		.amdhsa_system_vgpr_workitem_id 0
		.amdhsa_next_free_vgpr 152
		.amdhsa_next_free_sgpr 22
		.amdhsa_accum_offset 152
		.amdhsa_reserve_vcc 1
		.amdhsa_float_round_mode_32 0
		.amdhsa_float_round_mode_16_64 0
		.amdhsa_float_denorm_mode_32 3
		.amdhsa_float_denorm_mode_16_64 3
		.amdhsa_dx10_clamp 1
		.amdhsa_ieee_mode 1
		.amdhsa_fp16_overflow 0
		.amdhsa_tg_split 0
		.amdhsa_exception_fp_ieee_invalid_op 0
		.amdhsa_exception_fp_denorm_src 0
		.amdhsa_exception_fp_ieee_div_zero 0
		.amdhsa_exception_fp_ieee_overflow 0
		.amdhsa_exception_fp_ieee_underflow 0
		.amdhsa_exception_fp_ieee_inexact 0
		.amdhsa_exception_int_div_zero 0
	.end_amdhsa_kernel
	.text
.Lfunc_end0:
	.size	fft_rtc_fwd_len128_factors_2_4_4_4_wgs_128_tpt_4_dim2_sp_ip_CI_sbcc_twdbase8_3step_dirReg, .Lfunc_end0-fft_rtc_fwd_len128_factors_2_4_4_4_wgs_128_tpt_4_dim2_sp_ip_CI_sbcc_twdbase8_3step_dirReg
                                        ; -- End function
	.section	.AMDGPU.csdata,"",@progbits
; Kernel info:
; codeLenInByte = 15636
; NumSgprs: 28
; NumVgprs: 152
; NumAgprs: 0
; TotalNumVgprs: 152
; ScratchSize: 0
; MemoryBound: 0
; FloatMode: 240
; IeeeMode: 1
; LDSByteSize: 0 bytes/workgroup (compile time only)
; SGPRBlocks: 3
; VGPRBlocks: 18
; NumSGPRsForWavesPerEU: 28
; NumVGPRsForWavesPerEU: 152
; AccumOffset: 152
; Occupancy: 3
; WaveLimiterHint : 1
; COMPUTE_PGM_RSRC2:SCRATCH_EN: 0
; COMPUTE_PGM_RSRC2:USER_SGPR: 2
; COMPUTE_PGM_RSRC2:TRAP_HANDLER: 0
; COMPUTE_PGM_RSRC2:TGID_X_EN: 1
; COMPUTE_PGM_RSRC2:TGID_Y_EN: 0
; COMPUTE_PGM_RSRC2:TGID_Z_EN: 0
; COMPUTE_PGM_RSRC2:TIDIG_COMP_CNT: 0
; COMPUTE_PGM_RSRC3_GFX90A:ACCUM_OFFSET: 37
; COMPUTE_PGM_RSRC3_GFX90A:TG_SPLIT: 0
	.text
	.p2alignl 6, 3212836864
	.fill 256, 4, 3212836864
	.type	__hip_cuid_fb1a001ebe26d7dd,@object ; @__hip_cuid_fb1a001ebe26d7dd
	.section	.bss,"aw",@nobits
	.globl	__hip_cuid_fb1a001ebe26d7dd
__hip_cuid_fb1a001ebe26d7dd:
	.byte	0                               ; 0x0
	.size	__hip_cuid_fb1a001ebe26d7dd, 1

	.ident	"AMD clang version 19.0.0git (https://github.com/RadeonOpenCompute/llvm-project roc-6.4.0 25133 c7fe45cf4b819c5991fe208aaa96edf142730f1d)"
	.section	".note.GNU-stack","",@progbits
	.addrsig
	.addrsig_sym __hip_cuid_fb1a001ebe26d7dd
	.amdgpu_metadata
---
amdhsa.kernels:
  - .agpr_count:     0
    .args:
      - .actual_access:  read_only
        .address_space:  global
        .offset:         0
        .size:           8
        .value_kind:     global_buffer
      - .address_space:  global
        .offset:         8
        .size:           8
        .value_kind:     global_buffer
      - .actual_access:  read_only
        .address_space:  global
        .offset:         16
        .size:           8
        .value_kind:     global_buffer
      - .actual_access:  read_only
        .address_space:  global
        .offset:         24
        .size:           8
        .value_kind:     global_buffer
      - .offset:         32
        .size:           8
        .value_kind:     by_value
      - .actual_access:  read_only
        .address_space:  global
        .offset:         40
        .size:           8
        .value_kind:     global_buffer
      - .actual_access:  read_only
        .address_space:  global
        .offset:         48
        .size:           8
        .value_kind:     global_buffer
      - .offset:         56
        .size:           4
        .value_kind:     by_value
      - .actual_access:  read_only
        .address_space:  global
        .offset:         64
        .size:           8
        .value_kind:     global_buffer
      - .actual_access:  read_only
        .address_space:  global
        .offset:         72
        .size:           8
        .value_kind:     global_buffer
      - .address_space:  global
        .offset:         80
        .size:           8
        .value_kind:     global_buffer
    .group_segment_fixed_size: 0
    .kernarg_segment_align: 8
    .kernarg_segment_size: 88
    .language:       OpenCL C
    .language_version:
      - 2
      - 0
    .max_flat_workgroup_size: 128
    .name:           fft_rtc_fwd_len128_factors_2_4_4_4_wgs_128_tpt_4_dim2_sp_ip_CI_sbcc_twdbase8_3step_dirReg
    .private_segment_fixed_size: 0
    .sgpr_count:     28
    .sgpr_spill_count: 0
    .symbol:         fft_rtc_fwd_len128_factors_2_4_4_4_wgs_128_tpt_4_dim2_sp_ip_CI_sbcc_twdbase8_3step_dirReg.kd
    .uniform_work_group_size: 1
    .uses_dynamic_stack: false
    .vgpr_count:     152
    .vgpr_spill_count: 0
    .wavefront_size: 64
amdhsa.target:   amdgcn-amd-amdhsa--gfx950
amdhsa.version:
  - 1
  - 2
...

	.end_amdgpu_metadata
